;; amdgpu-corpus repo=zjin-lcf/HeCBench kind=compiled arch=gfx906 opt=O3
	.amdgcn_target "amdgcn-amd-amdhsa--gfx906"
	.amdhsa_code_object_version 6
	.text
	.protected	_Z15updatePressuresP14fluid_particlePK5param ; -- Begin function _Z15updatePressuresP14fluid_particlePK5param
	.globl	_Z15updatePressuresP14fluid_particlePK5param
	.p2align	8
	.type	_Z15updatePressuresP14fluid_particlePK5param,@function
_Z15updatePressuresP14fluid_particlePK5param: ; @_Z15updatePressuresP14fluid_particlePK5param
; %bb.0:
	s_load_dwordx2 s[12:13], s[4:5], 0x8
	s_load_dword s0, s[4:5], 0x1c
	s_waitcnt lgkmcnt(0)
	s_and_b32 s0, s0, 0xffff
	s_load_dword s33, s[12:13], 0x4c
	s_mul_i32 s6, s6, s0
	v_add_u32_e32 v0, s6, v0
	s_waitcnt lgkmcnt(0)
	v_cmp_gt_i32_e32 vcc, s33, v0
	s_and_saveexec_b64 s[0:1], vcc
	s_cbranch_execz .LBB0_13
; %bb.1:
	s_load_dwordx2 s[2:3], s[4:5], 0x0
	s_movk_i32 s0, 0x70
	s_cmp_lt_i32 s33, 1
	s_waitcnt lgkmcnt(0)
	v_mov_b32_e32 v1, s2
	v_mov_b32_e32 v2, s3
	v_mad_i64_i32 v[14:15], s[0:1], v0, s0, v[1:2]
	global_load_dwordx2 v[0:1], v[14:15], off
	s_cbranch_scc1 .LBB0_12
; %bb.2:
	s_load_dwordx2 s[14:15], s[12:13], 0x18
	v_mov_b32_e32 v2, 0x54442d18
	v_mov_b32_e32 v3, 0x400921fb
	s_load_dwordx2 s[16:17], s[12:13], 0x28
	s_load_dwordx2 s[18:19], s[12:13], 0x8
	s_add_u32 s20, s2, 32
	s_waitcnt lgkmcnt(0)
	v_mul_f64 v[2:3], s[14:15], v[2:3]
	v_mul_f64 v[24:25], s[14:15], s[14:15]
	s_mov_b32 s22, 0
	s_mov_b32 s24, 0
	;; [unrolled: 1-line block ×6, first 2 shown]
	v_mul_f64 v[2:3], s[14:15], v[2:3]
	v_div_scale_f64 v[16:17], s[0:1], v[24:25], v[24:25], -1.0
	s_mov_b32 s36, 0xcfa74449
	s_mov_b32 s38, 0x71bf3c30
	;; [unrolled: 1-line block ×5, first 2 shown]
	v_mul_f64 v[22:23], s[14:15], v[2:3]
	global_load_dwordx4 v[2:5], v[14:15], off offset:48
	global_load_dwordx4 v[6:9], v[14:15], off offset:32
	;; [unrolled: 1-line block ×3, first 2 shown]
	s_mov_b32 s46, 0xfefa39ef
	s_mov_b32 s48, 0x3b39803f
	;; [unrolled: 1-line block ×6, first 2 shown]
	v_div_scale_f64 v[18:19], s[0:1], v[22:23], v[22:23], 1.0
	v_rcp_f64_e32 v[26:27], v[16:17]
	v_div_scale_f64 v[32:33], s[0:1], -1.0, v[24:25], -1.0
	s_mov_b32 s62, 0x623fde64
	s_mov_b32 s64, 0x7c89e6b0
	;; [unrolled: 1-line block ×11, first 2 shown]
	v_rcp_f64_e32 v[20:21], v[18:19]
	s_mov_b32 s84, 0
	v_fma_f64 v[30:31], -v[16:17], v[26:27], 1.0
	s_brev_b32 s23, 8
	s_mov_b32 s25, 0xc0080000
	s_mov_b32 s27, 0x3fe55555
	;; [unrolled: 1-line block ×6, first 2 shown]
	v_fma_f64 v[26:27], v[26:27], v[30:31], v[26:27]
	s_mov_b32 s39, 0x3fc745d1
	s_mov_b32 s41, 0x3fcc71c7
	;; [unrolled: 1-line block ×5, first 2 shown]
	v_fma_f64 v[28:29], -v[18:19], v[20:21], 1.0
	s_mov_b32 s49, 0x3c7abc9e
	v_fma_f64 v[34:35], -v[16:17], v[26:27], 1.0
	s_mov_b32 s51, 0xbfe55555
	s_mov_b32 s53, 0x3c8543b0
	s_movk_i32 s94, 0x204
	s_mov_b32 s55, 0x7ff00000
	s_mov_b32 s57, 0x3ff71547
	v_fma_f64 v[20:21], v[20:21], v[28:29], v[20:21]
	v_div_scale_f64 v[28:29], vcc, 1.0, v[22:23], 1.0
	v_fma_f64 v[26:27], v[26:27], v[34:35], v[26:27]
	s_mov_b32 s59, 0xbfe62e42
	s_mov_b32 s61, 0x3e5ade15
	;; [unrolled: 1-line block ×4, first 2 shown]
	v_fma_f64 v[30:31], -v[18:19], v[20:21], 1.0
	s_mov_b32 s67, 0x3f2a01a0
	s_mov_b32 s69, 0x3f56c16c
	v_mul_f64 v[34:35], v[32:33], v[26:27]
	s_mov_b32 s71, 0x3f811111
	s_mov_b32 s73, 0x3fa55555
	v_mov_b32_e32 v40, 0x3ff00000
	v_mov_b32_e32 v41, 0x7ff00000
	v_fma_f64 v[20:21], v[20:21], v[30:31], v[20:21]
	s_mov_b32 s75, 0x3fc55555
	s_mov_b32 s77, 0x3fe00000
	v_fma_f64 v[16:17], -v[16:17], v[34:35], v[32:33]
	s_mov_b32 s79, 0x40900000
	s_mov_b32 s81, 0xc090cc00
	s_brev_b32 s95, -2
	s_addc_u32 s21, s3, 0
	v_mul_f64 v[30:31], v[28:29], v[20:21]
	s_mov_b32 s83, 0x40080000
	s_mov_b32 s85, 0xc0020000
	;; [unrolled: 1-line block ×3, first 2 shown]
	v_fma_f64 v[18:19], -v[18:19], v[30:31], v[28:29]
	v_div_fmas_f64 v[28:29], v[18:19], v[20:21], v[30:31]
	s_mov_b64 vcc, s[0:1]
	v_div_fmas_f64 v[26:27], v[16:17], v[26:27], v[34:35]
	v_mul_f64 v[20:21], s[14:15], 4.0
	v_mov_b32_e32 v16, 0
	v_mov_b32_e32 v18, 0x968915a9
	;; [unrolled: 1-line block ×3, first 2 shown]
	v_div_fixup_f64 v[22:23], v[28:29], v[22:23], 1.0
	v_div_fixup_f64 v[24:25], v[26:27], v[24:25], -1.0
	v_mov_b32_e32 v26, 0xfca7ab0c
	v_mov_b32_e32 v27, 0x3e928af3
	s_branch .LBB0_5
.LBB0_3:                                ;   in Loop: Header=BB0_5 Depth=1
	s_or_b64 exec, exec, s[0:1]
	v_mul_f64 v[38:39], v[22:23], v[38:39]
.LBB0_4:                                ;   in Loop: Header=BB0_5 Depth=1
	s_or_b64 exec, exec, s[88:89]
	v_add_f64 v[34:35], v[2:3], -s[8:9]
	v_mul_f64 v[36:37], s[18:19], v[38:39]
	v_add_f64 v[38:39], v[8:9], -s[6:7]
	v_add_f64 v[42:43], v[4:5], -s[10:11]
	s_add_i32 s33, s33, -1
	s_add_u32 s20, s20, 0x70
	s_addc_u32 s21, s21, 0
	s_cmp_eq_u32 s33, 0
	v_mul_f64 v[34:35], v[34:35], v[36:37]
	v_mul_f64 v[38:39], v[38:39], v[36:37]
	;; [unrolled: 1-line block ×4, first 2 shown]
	v_fma_f64 v[28:29], v[28:29], v[38:39], v[30:31]
	v_fma_f64 v[28:29], v[32:33], v[34:35], v[28:29]
	;; [unrolled: 1-line block ×3, first 2 shown]
	s_cbranch_scc1 .LBB0_12
.LBB0_5:                                ; =>This Inner Loop Header: Depth=1
	s_add_u32 s8, s20, -16
	s_addc_u32 s9, s21, -1
	s_load_dwordx8 s[0:7], s[8:9], 0x0
	v_mov_b32_e32 v17, 0x100
	s_load_dwordx4 s[8:11], s[20:21], 0x10
	s_waitcnt vmcnt(0) lgkmcnt(0)
	v_add_f64 v[30:31], v[12:13], -s[2:3]
	v_add_f64 v[28:29], v[10:11], -s[0:1]
	;; [unrolled: 1-line block ×3, first 2 shown]
	v_mul_f64 v[34:35], v[30:31], v[30:31]
	v_fma_f64 v[34:35], v[28:29], v[28:29], v[34:35]
	v_fma_f64 v[34:35], v[32:33], v[32:33], v[34:35]
	v_cmp_gt_f64_e32 vcc, s[22:23], v[34:35]
	v_cndmask_b32_e32 v17, 0, v17, vcc
	v_ldexp_f64 v[34:35], v[34:35], v17
	v_mov_b32_e32 v17, 0xffffff80
	v_cndmask_b32_e32 v17, 0, v17, vcc
	v_rsq_f64_e32 v[36:37], v[34:35]
	v_mul_f64 v[38:39], v[34:35], v[36:37]
	v_mul_f64 v[36:37], v[36:37], 0.5
	v_fma_f64 v[42:43], -v[36:37], v[38:39], 0.5
	v_fma_f64 v[38:39], v[38:39], v[42:43], v[38:39]
	v_fma_f64 v[36:37], v[36:37], v[42:43], v[36:37]
	v_fma_f64 v[42:43], -v[38:39], v[38:39], v[34:35]
	v_fma_f64 v[38:39], v[42:43], v[36:37], v[38:39]
	v_fma_f64 v[42:43], -v[38:39], v[38:39], v[34:35]
	v_fma_f64 v[36:37], v[42:43], v[36:37], v[38:39]
	v_mov_b32_e32 v38, 0x260
	v_cmp_class_f64_e32 vcc, v[34:35], v38
	v_ldexp_f64 v[36:37], v[36:37], v17
	v_cndmask_b32_e32 v37, v37, v35, vcc
	v_cndmask_b32_e32 v36, v36, v34, vcc
	v_div_scale_f64 v[34:35], s[0:1], s[14:15], s[14:15], v[36:37]
	v_div_scale_f64 v[44:45], vcc, v[36:37], s[14:15], v[36:37]
	v_rcp_f64_e32 v[38:39], v[34:35]
	v_fma_f64 v[42:43], -v[34:35], v[38:39], 1.0
	v_fma_f64 v[38:39], v[38:39], v[42:43], v[38:39]
	v_fma_f64 v[42:43], -v[34:35], v[38:39], 1.0
	v_fma_f64 v[38:39], v[38:39], v[42:43], v[38:39]
	v_mul_f64 v[42:43], v[44:45], v[38:39]
	v_fma_f64 v[34:35], -v[34:35], v[42:43], v[44:45]
	v_div_fmas_f64 v[34:35], v[34:35], v[38:39], v[42:43]
	v_mov_b32_e32 v38, 0
	v_mov_b32_e32 v39, 0
	v_div_fixup_f64 v[34:35], v[34:35], s[14:15], v[36:37]
	v_cmp_nle_f64_e32 vcc, 2.0, v[34:35]
	s_and_saveexec_b64 s[88:89], vcc
	s_cbranch_execz .LBB0_4
; %bb.6:                                ;   in Loop: Header=BB0_5 Depth=1
	v_cmp_ngt_f64_e32 vcc, 1.0, v[34:35]
                                        ; implicit-def: $vgpr38_vgpr39
	s_and_saveexec_b64 s[0:1], vcc
	s_xor_b64 s[90:91], exec, s[0:1]
	s_cbranch_execz .LBB0_10
; %bb.7:                                ;   in Loop: Header=BB0_5 Depth=1
	v_cmp_le_f64_e32 vcc, 1.0, v[34:35]
	v_cmp_gt_f64_e64 s[0:1], 2.0, v[34:35]
	v_mov_b32_e32 v38, 0
	v_mov_b32_e32 v39, 0
	s_and_b64 s[0:1], vcc, s[0:1]
	s_and_saveexec_b64 s[92:93], s[0:1]
	s_cbranch_execz .LBB0_9
; %bb.8:                                ;   in Loop: Header=BB0_5 Depth=1
	v_add_f64 v[34:35], -v[34:35], 2.0
	s_mov_b32 s50, s26
	s_mov_b32 s58, s46
	;; [unrolled: 1-line block ×3, first 2 shown]
	v_mul_f64 v[36:37], v[36:37], v[20:21]
	v_frexp_mant_f64_e64 v[38:39], |v[34:35]|
	v_cmp_gt_f64_e32 vcc, s[26:27], v[38:39]
	v_cndmask_b32_e64 v17, 0, 1, vcc
	v_ldexp_f64 v[38:39], v[38:39], v17
	v_frexp_exp_i32_f64_e32 v17, v[34:35]
	v_add_f64 v[42:43], v[38:39], 1.0
	v_add_f64 v[48:49], v[38:39], -1.0
	v_subbrev_co_u32_e32 v17, vcc, 0, v17, vcc
	v_cmp_eq_f64_e32 vcc, 1.0, v[34:35]
	v_rcp_f64_e32 v[44:45], v[42:43]
	v_add_f64 v[50:51], v[42:43], -1.0
	v_add_f64 v[38:39], v[38:39], -v[50:51]
	v_fma_f64 v[46:47], -v[42:43], v[44:45], 1.0
	v_fma_f64 v[44:45], v[46:47], v[44:45], v[44:45]
	v_fma_f64 v[46:47], -v[42:43], v[44:45], 1.0
	v_fma_f64 v[44:45], v[46:47], v[44:45], v[44:45]
	v_mul_f64 v[46:47], v[48:49], v[44:45]
	v_mul_f64 v[52:53], v[42:43], v[46:47]
	v_fma_f64 v[42:43], v[46:47], v[42:43], -v[52:53]
	v_fma_f64 v[38:39], v[46:47], v[38:39], v[42:43]
	v_add_f64 v[42:43], v[52:53], v[38:39]
	v_add_f64 v[50:51], v[48:49], -v[42:43]
	v_add_f64 v[52:53], v[42:43], -v[52:53]
	;; [unrolled: 1-line block ×5, first 2 shown]
	v_add_f64 v[38:39], v[38:39], v[42:43]
	v_add_f64 v[38:39], v[50:51], v[38:39]
	v_mul_f64 v[38:39], v[44:45], v[38:39]
	v_add_f64 v[42:43], v[46:47], v[38:39]
	v_add_f64 v[44:45], v[42:43], -v[46:47]
	v_mul_f64 v[46:47], v[42:43], v[42:43]
	v_add_f64 v[38:39], v[38:39], -v[44:45]
	v_fma_f64 v[44:45], v[42:43], v[42:43], -v[46:47]
	v_add_f64 v[48:49], v[38:39], v[38:39]
	v_fma_f64 v[44:45], v[42:43], v[48:49], v[44:45]
	v_add_f64 v[48:49], v[46:47], v[44:45]
	v_fma_f64 v[50:51], v[48:49], s[28:29], v[18:19]
	v_add_f64 v[46:47], v[48:49], -v[46:47]
	v_mul_f64 v[56:57], v[42:43], v[48:49]
	v_fma_f64 v[50:51], v[48:49], v[50:51], s[30:31]
	v_add_f64 v[44:45], v[44:45], -v[46:47]
	v_fma_f64 v[50:51], v[48:49], v[50:51], s[34:35]
	v_fma_f64 v[50:51], v[48:49], v[50:51], s[36:37]
	;; [unrolled: 1-line block ×6, first 2 shown]
	v_mul_f64 v[52:53], v[48:49], v[50:51]
	v_fma_f64 v[46:47], v[48:49], v[50:51], -v[52:53]
	v_fma_f64 v[46:47], v[44:45], v[50:51], v[46:47]
	v_add_f64 v[50:51], v[52:53], v[46:47]
	v_add_f64 v[54:55], v[50:51], s[26:27]
	v_add_f64 v[52:53], v[50:51], -v[52:53]
	v_add_f64 v[58:59], v[54:55], s[50:51]
	v_add_f64 v[46:47], v[46:47], -v[52:53]
	v_fma_f64 v[52:53], v[48:49], v[42:43], -v[56:57]
	v_add_f64 v[50:51], v[50:51], -v[58:59]
	v_add_f64 v[46:47], v[46:47], s[52:53]
	v_fma_f64 v[48:49], v[48:49], v[38:39], v[52:53]
	v_ldexp_f64 v[38:39], v[38:39], 1
	v_add_f64 v[46:47], v[46:47], v[50:51]
	v_fma_f64 v[44:45], v[44:45], v[42:43], v[48:49]
	v_ldexp_f64 v[42:43], v[42:43], 1
	v_add_f64 v[48:49], v[54:55], v[46:47]
	v_add_f64 v[50:51], v[56:57], v[44:45]
	v_add_f64 v[52:53], v[54:55], -v[48:49]
	v_mul_f64 v[54:55], v[50:51], v[48:49]
	v_add_f64 v[56:57], v[50:51], -v[56:57]
	v_add_f64 v[46:47], v[46:47], v[52:53]
	v_fma_f64 v[52:53], v[50:51], v[48:49], -v[54:55]
	v_add_f64 v[44:45], v[44:45], -v[56:57]
	v_fma_f64 v[46:47], v[50:51], v[46:47], v[52:53]
	v_cvt_f64_i32_e32 v[52:53], v17
	v_cndmask_b32_e32 v17, 2.0, v40, vcc
	v_fma_f64 v[44:45], v[44:45], v[48:49], v[46:47]
	v_add_f64 v[46:47], v[54:55], v[44:45]
	v_add_f64 v[48:49], v[42:43], v[46:47]
	v_add_f64 v[50:51], v[46:47], -v[54:55]
	v_mul_f64 v[54:55], v[52:53], s[46:47]
	v_add_f64 v[42:43], v[48:49], -v[42:43]
	v_add_f64 v[44:45], v[44:45], -v[50:51]
	v_fma_f64 v[50:51], v[52:53], s[46:47], -v[54:55]
	v_add_f64 v[42:43], v[46:47], -v[42:43]
	v_add_f64 v[38:39], v[38:39], v[44:45]
	v_fma_f64 v[44:45], v[52:53], s[48:49], v[50:51]
	v_add_f64 v[38:39], v[38:39], v[42:43]
	v_add_f64 v[42:43], v[54:55], v[44:45]
	;; [unrolled: 1-line block ×3, first 2 shown]
	v_add_f64 v[54:55], v[42:43], -v[54:55]
	v_add_f64 v[50:51], v[42:43], v[46:47]
	v_add_f64 v[48:49], v[46:47], -v[48:49]
	v_add_f64 v[44:45], v[44:45], -v[54:55]
	v_div_scale_f64 v[54:55], s[0:1], v[36:37], v[36:37], s[24:25]
	v_add_f64 v[52:53], v[50:51], -v[42:43]
	v_add_f64 v[38:39], v[38:39], -v[48:49]
	;; [unrolled: 1-line block ×4, first 2 shown]
	v_add_f64 v[48:49], v[44:45], v[38:39]
	v_add_f64 v[42:43], v[42:43], -v[56:57]
	v_rcp_f64_e32 v[56:57], v[54:55]
	v_add_f64 v[42:43], v[46:47], v[42:43]
	v_add_f64 v[46:47], v[48:49], -v[44:45]
	v_add_f64 v[42:43], v[48:49], v[42:43]
	v_add_f64 v[48:49], v[48:49], -v[46:47]
	v_add_f64 v[38:39], v[38:39], -v[46:47]
	v_fma_f64 v[58:59], -v[54:55], v[56:57], 1.0
	v_add_f64 v[52:53], v[50:51], v[42:43]
	v_add_f64 v[44:45], v[44:45], -v[48:49]
	v_fma_f64 v[56:57], v[56:57], v[58:59], v[56:57]
	v_add_f64 v[46:47], v[52:53], -v[50:51]
	v_add_f64 v[38:39], v[38:39], v[44:45]
	v_fma_f64 v[58:59], -v[54:55], v[56:57], 1.0
	v_add_f64 v[42:43], v[42:43], -v[46:47]
	v_add_f64 v[38:39], v[38:39], v[42:43]
	v_add_f64 v[42:43], v[52:53], v[38:39]
	v_add_f64 v[44:45], v[42:43], -v[52:53]
	v_mul_f64 v[46:47], v[16:17], v[42:43]
	v_add_f64 v[38:39], v[38:39], -v[44:45]
	v_fma_f64 v[42:43], v[16:17], v[42:43], -v[46:47]
	v_cmp_class_f64_e64 vcc, v[46:47], s94
	v_fma_f64 v[38:39], v[16:17], v[38:39], v[42:43]
	v_add_f64 v[42:43], v[46:47], v[38:39]
	v_cndmask_b32_e32 v45, v43, v47, vcc
	v_cndmask_b32_e32 v44, v42, v46, vcc
	v_mul_f64 v[48:49], v[44:45], s[56:57]
	v_div_scale_f64 v[60:61], vcc, s[24:25], v[36:37], s[24:25]
	v_add_f64 v[42:43], v[42:43], -v[46:47]
	v_cmp_neq_f64_e64 s[0:1], |v[44:45]|, s[54:55]
	v_cmp_nlt_f64_e64 s[2:3], s[78:79], v[44:45]
	v_cmp_ngt_f64_e64 s[4:5], s[80:81], v[44:45]
	v_rndne_f64_e32 v[48:49], v[48:49]
	v_add_f64 v[38:39], v[38:39], -v[42:43]
	v_fma_f64 v[50:51], v[48:49], s[58:59], v[44:45]
	v_cndmask_b32_e64 v39, 0, v39, s[0:1]
	v_cndmask_b32_e64 v38, 0, v38, s[0:1]
	s_and_b64 s[0:1], s[4:5], s[2:3]
	v_fma_f64 v[50:51], v[48:49], s[86:87], v[50:51]
	v_cvt_i32_f64_e32 v48, v[48:49]
	v_fma_f64 v[52:53], v[50:51], s[60:61], v[26:27]
	v_fma_f64 v[52:53], v[50:51], v[52:53], s[62:63]
	;; [unrolled: 1-line block ×9, first 2 shown]
	v_fma_f64 v[52:53], v[50:51], v[52:53], 1.0
	v_fma_f64 v[50:51], v[50:51], v[52:53], 1.0
	v_fma_f64 v[52:53], v[56:57], v[58:59], v[56:57]
	v_ldexp_f64 v[46:47], v[50:51], v48
	v_mul_f64 v[48:49], v[16:17], 0.5
	v_mul_f64 v[50:51], v[60:61], v[52:53]
	v_cndmask_b32_e64 v47, v41, v47, s[2:3]
	v_trunc_f64_e32 v[42:43], v[48:49]
	v_fma_f64 v[44:45], -v[54:55], v[50:51], v[60:61]
	v_trunc_f64_e32 v[54:55], v[16:17]
	v_cndmask_b32_e64 v46, 0, v46, s[0:1]
	v_cndmask_b32_e64 v47, 0, v47, s[4:5]
	v_fma_f64 v[38:39], v[46:47], v[38:39], v[46:47]
	v_cmp_class_f64_e64 s[4:5], v[34:35], s94
	v_cmp_neq_f64_e64 s[0:1], v[42:43], v[48:49]
	v_div_fmas_f64 v[42:43], v[44:45], v[52:53], v[50:51]
	v_cmp_class_f64_e64 vcc, v[46:47], s94
	v_cmp_eq_f64_e64 s[2:3], v[54:55], v[16:17]
	v_cndmask_b32_e32 v38, v38, v46, vcc
	v_cndmask_b32_e32 v17, v39, v47, vcc
	s_and_b64 vcc, s[2:3], s[0:1]
	v_cndmask_b32_e32 v44, v40, v35, vcc
	v_bfi_b32 v17, s95, v17, v44
	v_mov_b32_e32 v44, 0x7ff80000
	v_cndmask_b32_e64 v39, 0, v38, s[2:3]
	v_cndmask_b32_e64 v44, v44, v17, s[2:3]
	v_cmp_eq_f64_e64 s[2:3], 0, v[34:35]
	v_cmp_gt_f64_e64 s[0:1], 0, v[34:35]
	v_div_fixup_f64 v[36:37], v[42:43], v[36:37], s[24:25]
	v_cndmask_b32_e32 v35, 0, v35, vcc
	v_cndmask_b32_e64 v34, v41, 0, s[2:3]
	v_bfi_b32 v35, s95, v34, v35
	v_cndmask_b32_e64 v17, v17, v44, s[0:1]
	v_cndmask_b32_e64 v34, v38, v39, s[0:1]
	s_or_b64 vcc, s[2:3], s[4:5]
	v_cndmask_b32_e64 v34, v34, 0, vcc
	v_cndmask_b32_e32 v35, v17, v35, vcc
	v_mul_f64 v[38:39], v[36:37], v[34:35]
.LBB0_9:                                ;   in Loop: Header=BB0_5 Depth=1
	s_or_b64 exec, exec, s[92:93]
                                        ; implicit-def: $vgpr34_vgpr35
.LBB0_10:                               ;   in Loop: Header=BB0_5 Depth=1
	s_andn2_saveexec_b64 s[0:1], s[90:91]
	s_cbranch_execz .LBB0_3
; %bb.11:                               ;   in Loop: Header=BB0_5 Depth=1
	v_mov_b32_e32 v36, s82
	v_mov_b32_e32 v37, s83
	v_fma_f64 v[34:35], v[34:35], s[84:85], v[36:37]
	v_mul_f64 v[38:39], v[24:25], v[34:35]
	s_branch .LBB0_3
.LBB0_12:
	s_load_dwordx2 s[0:1], s[12:13], 0x40
	s_load_dwordx2 s[2:3], s[12:13], 0x0
	s_mov_b32 s4, 0
	s_mov_b32 s5, 0x401c0000
	s_movk_i32 s8, 0x204
	s_waitcnt lgkmcnt(0)
	v_mov_b32_e32 v3, s1
	v_mov_b32_e32 v2, s0
	v_mul_f64 v[2:3], s[2:3], v[2:3]
	s_mov_b32 s6, 0x652b82fe
	s_mov_b32 s7, 0x3ff71547
	s_brev_b32 s9, -2
	v_mul_f64 v[2:3], s[0:1], v[2:3]
	s_waitcnt vmcnt(0)
	v_div_scale_f64 v[6:7], s[0:1], s[2:3], s[2:3], v[0:1]
	v_div_scale_f64 v[4:5], s[0:1], s[4:5], s[4:5], v[2:3]
	;; [unrolled: 1-line block ×3, first 2 shown]
	v_rcp_f64_e32 v[10:11], v[6:7]
	v_rcp_f64_e32 v[8:9], v[4:5]
	v_fma_f64 v[16:17], -v[6:7], v[10:11], 1.0
	v_fma_f64 v[12:13], -v[4:5], v[8:9], 1.0
	v_fma_f64 v[10:11], v[10:11], v[16:17], v[10:11]
	v_fma_f64 v[8:9], v[8:9], v[12:13], v[8:9]
	v_div_scale_f64 v[12:13], vcc, v[2:3], s[4:5], v[2:3]
	v_fma_f64 v[20:21], -v[6:7], v[10:11], 1.0
	v_fma_f64 v[16:17], -v[4:5], v[8:9], 1.0
	v_fma_f64 v[10:11], v[10:11], v[20:21], v[10:11]
	v_fma_f64 v[8:9], v[8:9], v[16:17], v[8:9]
	v_mul_f64 v[20:21], v[18:19], v[10:11]
	v_mul_f64 v[16:17], v[12:13], v[8:9]
	v_fma_f64 v[6:7], -v[6:7], v[20:21], v[18:19]
	v_fma_f64 v[4:5], -v[4:5], v[16:17], v[12:13]
	v_div_fmas_f64 v[4:5], v[4:5], v[8:9], v[16:17]
	s_mov_b64 vcc, s[0:1]
	v_div_fmas_f64 v[6:7], v[6:7], v[10:11], v[20:21]
	s_mov_b32 s1, 0x3fe55555
	s_mov_b32 s0, 0x55555555
	v_div_fixup_f64 v[2:3], v[4:5], s[4:5], v[2:3]
	v_div_fixup_f64 v[6:7], v[6:7], s[2:3], v[0:1]
	s_mov_b32 s2, 0x4222de17
	s_mov_b32 s3, 0x3fbdee67
	v_frexp_mant_f64_e64 v[8:9], |v[6:7]|
	v_cmp_gt_f64_e32 vcc, s[0:1], v[8:9]
	v_cndmask_b32_e64 v10, 0, 1, vcc
	v_ldexp_f64 v[8:9], v[8:9], v10
	v_add_f64 v[10:11], v[8:9], 1.0
	v_add_f64 v[18:19], v[8:9], -1.0
	v_rcp_f64_e32 v[12:13], v[10:11]
	v_add_f64 v[20:21], v[10:11], -1.0
	v_add_f64 v[8:9], v[8:9], -v[20:21]
	v_fma_f64 v[16:17], -v[10:11], v[12:13], 1.0
	v_fma_f64 v[12:13], v[16:17], v[12:13], v[12:13]
	v_fma_f64 v[16:17], -v[10:11], v[12:13], 1.0
	v_fma_f64 v[12:13], v[16:17], v[12:13], v[12:13]
	v_mul_f64 v[16:17], v[18:19], v[12:13]
	v_mul_f64 v[22:23], v[10:11], v[16:17]
	v_fma_f64 v[10:11], v[16:17], v[10:11], -v[22:23]
	v_fma_f64 v[8:9], v[16:17], v[8:9], v[10:11]
	v_add_f64 v[10:11], v[22:23], v[8:9]
	v_add_f64 v[20:21], v[18:19], -v[10:11]
	v_add_f64 v[22:23], v[10:11], -v[22:23]
	;; [unrolled: 1-line block ×5, first 2 shown]
	v_add_f64 v[8:9], v[8:9], v[10:11]
	v_add_f64 v[8:9], v[20:21], v[8:9]
	v_mov_b32_e32 v20, 0x968915a9
	v_mov_b32_e32 v21, 0x3fba6564
	v_mul_f64 v[8:9], v[12:13], v[8:9]
	v_add_f64 v[10:11], v[16:17], v[8:9]
	v_add_f64 v[12:13], v[10:11], -v[16:17]
	v_mul_f64 v[16:17], v[10:11], v[10:11]
	v_add_f64 v[8:9], v[8:9], -v[12:13]
	v_fma_f64 v[12:13], v[10:11], v[10:11], -v[16:17]
	v_add_f64 v[18:19], v[8:9], v[8:9]
	v_fma_f64 v[12:13], v[10:11], v[18:19], v[12:13]
	v_add_f64 v[18:19], v[16:17], v[12:13]
	v_fma_f64 v[20:21], v[18:19], s[2:3], v[20:21]
	s_mov_b32 s2, 0x3abe935a
	s_mov_b32 s3, 0x3fbe25e4
	v_add_f64 v[16:17], v[18:19], -v[16:17]
	v_mul_f64 v[26:27], v[10:11], v[18:19]
	v_fma_f64 v[20:21], v[18:19], v[20:21], s[2:3]
	s_mov_b32 s2, 0x47e6c9c2
	s_mov_b32 s3, 0x3fc110ef
	v_add_f64 v[12:13], v[12:13], -v[16:17]
	v_fma_f64 v[20:21], v[18:19], v[20:21], s[2:3]
	s_mov_b32 s2, 0xcfa74449
	s_mov_b32 s3, 0x3fc3b13b
	v_fma_f64 v[20:21], v[18:19], v[20:21], s[2:3]
	s_mov_b32 s2, 0x71bf3c30
	s_mov_b32 s3, 0x3fc745d1
	;; [unrolled: 3-line block ×6, first 2 shown]
	v_mul_f64 v[22:23], v[18:19], v[20:21]
	v_fma_f64 v[16:17], v[18:19], v[20:21], -v[22:23]
	v_fma_f64 v[16:17], v[12:13], v[20:21], v[16:17]
	v_add_f64 v[20:21], v[22:23], v[16:17]
	v_add_f64 v[24:25], v[20:21], s[0:1]
	v_add_f64 v[22:23], v[20:21], -v[22:23]
	s_mov_b32 s1, 0xbfe55555
	v_add_f64 v[28:29], v[24:25], s[0:1]
	v_add_f64 v[16:17], v[16:17], -v[22:23]
	v_fma_f64 v[22:23], v[18:19], v[10:11], -v[26:27]
	s_mov_b32 s0, 0xd5df274d
	s_mov_b32 s1, 0x3c8543b0
	v_add_f64 v[20:21], v[20:21], -v[28:29]
	v_add_f64 v[16:17], v[16:17], s[0:1]
	v_fma_f64 v[18:19], v[18:19], v[8:9], v[22:23]
	s_mov_b32 s1, 0x3fe62e42
	s_mov_b32 s0, 0xfefa39ef
	v_ldexp_f64 v[8:9], v[8:9], 1
	v_add_f64 v[16:17], v[16:17], v[20:21]
	v_fma_f64 v[12:13], v[12:13], v[10:11], v[18:19]
	v_ldexp_f64 v[10:11], v[10:11], 1
	v_add_f64 v[18:19], v[24:25], v[16:17]
	v_add_f64 v[20:21], v[26:27], v[12:13]
	v_add_f64 v[22:23], v[24:25], -v[18:19]
	v_mul_f64 v[24:25], v[20:21], v[18:19]
	v_add_f64 v[26:27], v[20:21], -v[26:27]
	v_add_f64 v[16:17], v[16:17], v[22:23]
	v_fma_f64 v[22:23], v[20:21], v[18:19], -v[24:25]
	v_add_f64 v[12:13], v[12:13], -v[26:27]
	v_fma_f64 v[16:17], v[20:21], v[16:17], v[22:23]
	v_fma_f64 v[12:13], v[12:13], v[18:19], v[16:17]
	v_frexp_exp_i32_f64_e32 v18, v[6:7]
	v_add_f64 v[16:17], v[24:25], v[12:13]
	v_subbrev_co_u32_e32 v22, vcc, 0, v18, vcc
	v_cvt_f64_i32_e32 v[22:23], v22
	v_cmp_eq_f64_e32 vcc, 1.0, v[6:7]
	v_add_f64 v[18:19], v[10:11], v[16:17]
	v_add_f64 v[20:21], v[16:17], -v[24:25]
	v_mul_f64 v[24:25], v[22:23], s[0:1]
	v_add_f64 v[10:11], v[18:19], -v[10:11]
	v_add_f64 v[12:13], v[12:13], -v[20:21]
	v_fma_f64 v[20:21], v[22:23], s[0:1], -v[24:25]
	s_mov_b32 s1, 0xbfe62e42
	v_add_f64 v[10:11], v[16:17], -v[10:11]
	v_add_f64 v[8:9], v[8:9], v[12:13]
	v_fma_f64 v[12:13], v[22:23], s[2:3], v[20:21]
	s_mov_b32 s3, 0xbc7abc9e
	v_add_f64 v[8:9], v[8:9], v[10:11]
	v_add_f64 v[10:11], v[24:25], v[12:13]
	;; [unrolled: 1-line block ×3, first 2 shown]
	v_add_f64 v[24:25], v[10:11], -v[24:25]
	v_add_f64 v[20:21], v[10:11], v[16:17]
	v_add_f64 v[18:19], v[16:17], -v[18:19]
	v_add_f64 v[12:13], v[12:13], -v[24:25]
	;; [unrolled: 1-line block ×6, first 2 shown]
	v_add_f64 v[18:19], v[12:13], v[8:9]
	v_add_f64 v[10:11], v[10:11], -v[26:27]
	v_mov_b32_e32 v26, 0xfca7ab0c
	v_mov_b32_e32 v27, 0x3e928af3
	v_add_f64 v[10:11], v[16:17], v[10:11]
	v_add_f64 v[16:17], v[18:19], -v[12:13]
	v_add_f64 v[10:11], v[18:19], v[10:11]
	v_add_f64 v[18:19], v[18:19], -v[16:17]
	v_add_f64 v[8:9], v[8:9], -v[16:17]
	v_add_f64 v[22:23], v[20:21], v[10:11]
	v_add_f64 v[12:13], v[12:13], -v[18:19]
	;; [unrolled: 3-line block ×3, first 2 shown]
	v_add_f64 v[11:12], v[8:9], v[10:11]
	v_mov_b32_e32 v9, 0x401c0000
	v_mov_b32_e32 v10, 0x3ff00000
	;; [unrolled: 1-line block ×3, first 2 shown]
	v_cndmask_b32_e32 v9, v9, v10, vcc
	v_add_f64 v[16:17], v[22:23], v[11:12]
	v_add_f64 v[18:19], v[16:17], -v[22:23]
	v_mul_f64 v[20:21], v[8:9], v[16:17]
	v_add_f64 v[11:12], v[11:12], -v[18:19]
	v_fma_f64 v[16:17], v[8:9], v[16:17], -v[20:21]
	v_cmp_class_f64_e64 vcc, v[20:21], s8
	v_fma_f64 v[11:12], v[8:9], v[11:12], v[16:17]
	v_add_f64 v[16:17], v[20:21], v[11:12]
	v_cndmask_b32_e32 v19, v17, v21, vcc
	v_cndmask_b32_e32 v18, v16, v20, vcc
	v_mul_f64 v[22:23], v[18:19], s[6:7]
	v_add_f64 v[16:17], v[16:17], -v[20:21]
	s_mov_b32 s6, 0
	s_mov_b32 s7, 0xc090cc00
	v_rndne_f64_e32 v[22:23], v[22:23]
	v_add_f64 v[11:12], v[11:12], -v[16:17]
	v_fma_f64 v[24:25], v[22:23], s[0:1], v[18:19]
	s_mov_b32 s0, 0x6a5dcb37
	s_mov_b32 s1, 0x3e5ade15
	v_cvt_i32_f64_e32 v13, v[22:23]
	v_fma_f64 v[24:25], v[22:23], s[2:3], v[24:25]
	s_mov_b32 s2, 0
	s_mov_b32 s3, 0x40900000
	v_mul_f64 v[22:23], v[8:9], 0.5
	v_fma_f64 v[26:27], v[24:25], s[0:1], v[26:27]
	s_mov_b32 s0, 0x623fde64
	s_mov_b32 s1, 0x3ec71dee
	v_trunc_f64_e32 v[16:17], v[22:23]
	v_fma_f64 v[26:27], v[24:25], v[26:27], s[0:1]
	s_mov_b32 s0, 0x7c89e6b0
	s_mov_b32 s1, 0x3efa0199
	v_fma_f64 v[26:27], v[24:25], v[26:27], s[0:1]
	s_mov_b32 s0, 0x14761f6e
	s_mov_b32 s1, 0x3f2a01a0
	;; [unrolled: 3-line block ×8, first 2 shown]
	v_cmp_neq_f64_e64 vcc, |v[18:19]|, s[0:1]
	v_cmp_nlt_f64_e64 s[0:1], s[2:3], v[18:19]
	v_cmp_ngt_f64_e64 s[2:3], s[6:7], v[18:19]
	v_cmp_class_f64_e64 s[6:7], v[6:7], s8
	v_fma_f64 v[26:27], v[24:25], v[26:27], 1.0
	v_cndmask_b32_e32 v12, 0, v12, vcc
	v_cndmask_b32_e32 v11, 0, v11, vcc
	s_and_b64 vcc, s[2:3], s[0:1]
	v_fma_f64 v[24:25], v[24:25], v[26:27], 1.0
	v_ldexp_f64 v[20:21], v[24:25], v13
	v_mov_b32_e32 v13, 0x7ff00000
	v_cndmask_b32_e64 v21, v13, v21, s[0:1]
	v_cndmask_b32_e64 v19, 0, v21, s[2:3]
	v_cndmask_b32_e32 v18, 0, v20, vcc
	v_trunc_f64_e32 v[20:21], v[8:9]
	v_cmp_neq_f64_e32 vcc, v[16:17], v[22:23]
	v_fma_f64 v[11:12], v[18:19], v[11:12], v[18:19]
	v_cmp_class_f64_e64 s[0:1], v[18:19], s8
	v_mov_b32_e32 v16, 0x7ff80000
	v_cmp_eq_f64_e64 s[2:3], v[20:21], v[8:9]
	v_cndmask_b32_e64 v8, v12, v19, s[0:1]
	v_cndmask_b32_e64 v11, v11, v18, s[0:1]
	v_cmp_gt_f64_e64 s[0:1], 0, v[6:7]
	s_and_b64 vcc, s[2:3], vcc
	v_cndmask_b32_e32 v10, v10, v7, vcc
	v_bfi_b32 v8, s9, v8, v10
	v_cndmask_b32_e64 v9, 0, v11, s[2:3]
	v_cndmask_b32_e64 v10, v16, v8, s[2:3]
	v_cmp_eq_f64_e64 s[2:3], 0, v[6:7]
	v_cndmask_b32_e64 v10, v8, v10, s[0:1]
	v_cndmask_b32_e64 v8, v11, v9, s[0:1]
	;; [unrolled: 1-line block ×3, first 2 shown]
	v_cndmask_b32_e32 v13, 0, v7, vcc
	v_bfi_b32 v12, s9, v12, v13
	s_or_b64 vcc, s[2:3], s[6:7]
	v_cndmask_b32_e64 v8, v8, 0, vcc
	v_cndmask_b32_e32 v9, v10, v12, vcc
	v_add_f64 v[8:9], v[8:9], -1.0
	v_cmp_o_f64_e32 vcc, v[6:7], v[6:7]
	v_cndmask_b32_e32 v5, v16, v9, vcc
	v_cndmask_b32_e32 v4, 0, v8, vcc
	v_mul_f64 v[2:3], v[2:3], v[4:5]
	global_store_dwordx4 v[14:15], v[0:3], off
.LBB0_13:
	s_endpgm
	.section	.rodata,"a",@progbits
	.p2align	6, 0x0
	.amdhsa_kernel _Z15updatePressuresP14fluid_particlePK5param
		.amdhsa_group_segment_fixed_size 0
		.amdhsa_private_segment_fixed_size 0
		.amdhsa_kernarg_size 272
		.amdhsa_user_sgpr_count 6
		.amdhsa_user_sgpr_private_segment_buffer 1
		.amdhsa_user_sgpr_dispatch_ptr 0
		.amdhsa_user_sgpr_queue_ptr 0
		.amdhsa_user_sgpr_kernarg_segment_ptr 1
		.amdhsa_user_sgpr_dispatch_id 0
		.amdhsa_user_sgpr_flat_scratch_init 0
		.amdhsa_user_sgpr_private_segment_size 0
		.amdhsa_uses_dynamic_stack 0
		.amdhsa_system_sgpr_private_segment_wavefront_offset 0
		.amdhsa_system_sgpr_workgroup_id_x 1
		.amdhsa_system_sgpr_workgroup_id_y 0
		.amdhsa_system_sgpr_workgroup_id_z 0
		.amdhsa_system_sgpr_workgroup_info 0
		.amdhsa_system_vgpr_workitem_id 0
		.amdhsa_next_free_vgpr 62
		.amdhsa_next_free_sgpr 96
		.amdhsa_reserve_vcc 1
		.amdhsa_reserve_flat_scratch 0
		.amdhsa_float_round_mode_32 0
		.amdhsa_float_round_mode_16_64 0
		.amdhsa_float_denorm_mode_32 3
		.amdhsa_float_denorm_mode_16_64 3
		.amdhsa_dx10_clamp 1
		.amdhsa_ieee_mode 1
		.amdhsa_fp16_overflow 0
		.amdhsa_exception_fp_ieee_invalid_op 0
		.amdhsa_exception_fp_denorm_src 0
		.amdhsa_exception_fp_ieee_div_zero 0
		.amdhsa_exception_fp_ieee_overflow 0
		.amdhsa_exception_fp_ieee_underflow 0
		.amdhsa_exception_fp_ieee_inexact 0
		.amdhsa_exception_int_div_zero 0
	.end_amdhsa_kernel
	.text
.Lfunc_end0:
	.size	_Z15updatePressuresP14fluid_particlePK5param, .Lfunc_end0-_Z15updatePressuresP14fluid_particlePK5param
                                        ; -- End function
	.set _Z15updatePressuresP14fluid_particlePK5param.num_vgpr, 62
	.set _Z15updatePressuresP14fluid_particlePK5param.num_agpr, 0
	.set _Z15updatePressuresP14fluid_particlePK5param.numbered_sgpr, 96
	.set _Z15updatePressuresP14fluid_particlePK5param.num_named_barrier, 0
	.set _Z15updatePressuresP14fluid_particlePK5param.private_seg_size, 0
	.set _Z15updatePressuresP14fluid_particlePK5param.uses_vcc, 1
	.set _Z15updatePressuresP14fluid_particlePK5param.uses_flat_scratch, 0
	.set _Z15updatePressuresP14fluid_particlePK5param.has_dyn_sized_stack, 0
	.set _Z15updatePressuresP14fluid_particlePK5param.has_recursion, 0
	.set _Z15updatePressuresP14fluid_particlePK5param.has_indirect_call, 0
	.section	.AMDGPU.csdata,"",@progbits
; Kernel info:
; codeLenInByte = 4924
; TotalNumSgprs: 100
; NumVgprs: 62
; ScratchSize: 0
; MemoryBound: 1
; FloatMode: 240
; IeeeMode: 1
; LDSByteSize: 0 bytes/workgroup (compile time only)
; SGPRBlocks: 12
; VGPRBlocks: 15
; NumSGPRsForWavesPerEU: 100
; NumVGPRsForWavesPerEU: 62
; Occupancy: 4
; WaveLimiterHint : 0
; COMPUTE_PGM_RSRC2:SCRATCH_EN: 0
; COMPUTE_PGM_RSRC2:USER_SGPR: 6
; COMPUTE_PGM_RSRC2:TRAP_HANDLER: 0
; COMPUTE_PGM_RSRC2:TGID_X_EN: 1
; COMPUTE_PGM_RSRC2:TGID_Y_EN: 0
; COMPUTE_PGM_RSRC2:TGID_Z_EN: 0
; COMPUTE_PGM_RSRC2:TIDIG_COMP_CNT: 0
	.text
	.protected	_Z21updateAccelerationsFPP14fluid_particlePK5param ; -- Begin function _Z21updateAccelerationsFPP14fluid_particlePK5param
	.globl	_Z21updateAccelerationsFPP14fluid_particlePK5param
	.p2align	8
	.type	_Z21updateAccelerationsFPP14fluid_particlePK5param,@function
_Z21updateAccelerationsFPP14fluid_particlePK5param: ; @_Z21updateAccelerationsFPP14fluid_particlePK5param
; %bb.0:
	s_mov_b64 s[98:99], s[2:3]
	s_mov_b64 s[96:97], s[0:1]
	s_load_dwordx2 s[28:29], s[4:5], 0x8
	s_load_dword s0, s[4:5], 0x1c
	s_add_u32 s96, s96, s7
	s_addc_u32 s97, s97, 0
	s_waitcnt lgkmcnt(0)
	s_load_dword s33, s[28:29], 0x4c
	s_and_b32 s0, s0, 0xffff
	s_mul_i32 s6, s6, s0
	v_add_u32_e32 v56, s6, v0
	s_waitcnt lgkmcnt(0)
	v_cmp_gt_i32_e32 vcc, s33, v56
	s_and_saveexec_b64 s[0:1], vcc
	s_cbranch_execz .LBB1_35
; %bb.1:
	s_load_dwordx2 s[30:31], s[4:5], 0x0
	s_movk_i32 s0, 0x70
	s_cmp_lt_i32 s33, 1
	s_waitcnt lgkmcnt(0)
	v_mov_b32_e32 v0, s30
	v_mov_b32_e32 v1, s31
	v_mad_i64_i32 v[4:5], s[0:1], v56, s0, v[0:1]
	s_cbranch_scc1 .LBB1_33
; %bb.2:
	global_load_dwordx4 v[60:63], v[4:5], off
	global_load_dwordx4 v[0:3], v[4:5], off offset:16
	s_mov_b32 s34, 0
	s_mov_b32 s36, 0x55555555
	;; [unrolled: 1-line block ×23, first 2 shown]
	v_mov_b32_e32 v22, 0x9999999a
	v_mov_b32_e32 v23, 0xc0239999
	s_mov_b32 s35, 0xc0080000
	s_mov_b32 s37, 0x3fe55555
	;; [unrolled: 1-line block ×8, first 2 shown]
	s_movk_i32 s48, 0x204
	s_mov_b32 s63, 0x7ff00000
	s_mov_b32 s65, 0x3ff71547
	;; [unrolled: 1-line block ×15, first 2 shown]
	v_mov_b32_e32 v59, 0x3ff00000
	s_brev_b32 s49, -2
	s_mov_b32 s93, 0x40080000
	s_mov_b32 s95, 0xc0020000
	v_mov_b32_e32 v57, 0x54442d18
	s_mov_b32 s39, 0x40240000
	v_mov_b32_e32 v58, 0x400921fb
	s_waitcnt vmcnt(0)
	buffer_store_dword v0, off, s[96:99], 0 ; 4-byte Folded Spill
	s_nop 0
	buffer_store_dword v1, off, s[96:99], 0 offset:4 ; 4-byte Folded Spill
	buffer_store_dword v2, off, s[96:99], 0 offset:8 ; 4-byte Folded Spill
	;; [unrolled: 1-line block ×3, first 2 shown]
	global_load_dwordx4 v[12:15], v[4:5], off offset:48
	s_nop 0
	buffer_store_dword v4, off, s[96:99], 0 offset:56 ; 4-byte Folded Spill
	s_nop 0
	buffer_store_dword v5, off, s[96:99], 0 offset:60 ; 4-byte Folded Spill
	v_mul_f64 v[2:3], v[60:61], v[60:61]
	v_mov_b32_e32 v0, 0
	v_mov_b32_e32 v1, 0
	v_div_scale_f64 v[24:25], s[0:1], v[2:3], v[2:3], v[62:63]
	v_rcp_f64_e32 v[26:27], v[24:25]
	v_fma_f64 v[28:29], -v[24:25], v[26:27], 1.0
	v_fma_f64 v[26:27], v[26:27], v[28:29], v[26:27]
	v_div_scale_f64 v[28:29], vcc, v[62:63], v[2:3], v[62:63]
	v_fma_f64 v[30:31], -v[24:25], v[26:27], 1.0
	v_fma_f64 v[26:27], v[26:27], v[30:31], v[26:27]
	v_mul_f64 v[30:31], v[28:29], v[26:27]
	global_load_dwordx4 v[16:19], v[4:5], off offset:32
	v_mov_b32_e32 v4, 0xfca7ab0c
	v_fma_f64 v[24:25], -v[24:25], v[30:31], v[28:29]
	v_mov_b32_e32 v5, 0x3e928af3
	v_div_fmas_f64 v[27:28], v[24:25], v[26:27], v[30:31]
	v_mov_b32_e32 v24, 0
	v_div_fixup_f64 v[62:63], v[27:28], v[2:3], v[62:63]
	v_mov_b32_e32 v2, 0x968915a9
	v_mov_b32_e32 v3, 0x3fba6564
	buffer_store_dword v2, off, s[96:99], 0 offset:16 ; 4-byte Folded Spill
	s_nop 0
	buffer_store_dword v3, off, s[96:99], 0 offset:20 ; 4-byte Folded Spill
	buffer_store_dword v4, off, s[96:99], 0 offset:24 ; 4-byte Folded Spill
	s_nop 0
	buffer_store_dword v5, off, s[96:99], 0 offset:28 ; 4-byte Folded Spill
	v_mov_b32_e32 v2, 0
	v_mov_b32_e32 v4, v60
	;; [unrolled: 1-line block ×4, first 2 shown]
	buffer_store_dword v4, off, s[96:99], 0 offset:32 ; 4-byte Folded Spill
	s_nop 0
	buffer_store_dword v5, off, s[96:99], 0 offset:36 ; 4-byte Folded Spill
	buffer_store_dword v6, off, s[96:99], 0 offset:40 ; 4-byte Folded Spill
	;; [unrolled: 1-line block ×4, first 2 shown]
	s_nop 0
	buffer_store_dword v63, off, s[96:99], 0 offset:52 ; 4-byte Folded Spill
	s_branch .LBB1_6
.LBB1_3:                                ;   in Loop: Header=BB1_6 Depth=1
	s_or_b64 exec, exec, s[0:1]
	v_mul_f64 v[40:41], v[38:39], v[40:41]
.LBB1_4:                                ;   in Loop: Header=BB1_6 Depth=1
	s_or_b64 exec, exec, s[4:5]
	v_mul_f64 v[4:5], s[26:27], v[40:41]
	v_fma_f64 v[6:7], v[32:33], v[4:5], v[48:49]
	v_fma_f64 v[8:9], v[34:35], v[4:5], v[46:47]
	;; [unrolled: 1-line block ×3, first 2 shown]
	v_add_f64 v[0:1], v[0:1], v[6:7]
	v_add_f64 v[2:3], v[2:3], v[8:9]
	;; [unrolled: 1-line block ×3, first 2 shown]
.LBB1_5:                                ;   in Loop: Header=BB1_6 Depth=1
	s_or_b64 exec, exec, s[40:41]
	s_add_u32 s30, s30, 0x70
	s_addc_u32 s31, s31, 0
	s_add_i32 s33, s33, -1
	s_cmp_eq_u32 s33, 0
	s_cbranch_scc1 .LBB1_32
.LBB1_6:                                ; =>This Inner Loop Header: Depth=1
	v_subrev_co_u32_e32 v56, vcc, 1, v56
	s_xor_b64 s[0:1], vcc, -1
	s_and_saveexec_b64 s[40:41], s[0:1]
	s_cbranch_execz .LBB1_5
; %bb.7:                                ;   in Loop: Header=BB1_6 Depth=1
	s_load_dwordx16 s[8:23], s[30:31], 0x0
	s_load_dwordx2 s[42:43], s[28:29], 0x8
	s_load_dwordx2 s[44:45], s[28:29], 0x18
	s_load_dwordx4 s[24:27], s[28:29], 0x30
	s_load_dwordx2 s[46:47], s[28:29], 0x40
	buffer_load_dword v4, off, s[96:99], 0  ; 4-byte Folded Reload
	buffer_load_dword v5, off, s[96:99], 0 offset:4 ; 4-byte Folded Reload
	buffer_load_dword v6, off, s[96:99], 0 offset:8 ; 4-byte Folded Reload
	;; [unrolled: 1-line block ×3, first 2 shown]
	s_mov_b32 s0, 0
	s_brev_b32 s1, 8
	s_waitcnt vmcnt(2) lgkmcnt(0)
	v_add_f64 v[32:33], v[4:5], -s[12:13]
	v_mov_b32_e32 v4, 0x100
	s_waitcnt vmcnt(0)
	v_add_f64 v[34:35], v[6:7], -s[14:15]
	v_mul_f64 v[36:37], v[34:35], v[34:35]
	v_fma_f64 v[38:39], v[32:33], v[32:33], v[36:37]
	v_add_f64 v[36:37], v[16:17], -s[16:17]
	v_fma_f64 v[40:41], v[36:37], v[36:37], v[38:39]
	v_cmp_gt_f64_e32 vcc, s[0:1], v[40:41]
	v_cndmask_b32_e32 v4, 0, v4, vcc
	v_ldexp_f64 v[38:39], v[40:41], v4
	v_mov_b32_e32 v4, 0xffffff80
	v_cndmask_b32_e32 v4, 0, v4, vcc
	v_rsq_f64_e32 v[42:43], v[38:39]
	v_mul_f64 v[44:45], v[38:39], v[42:43]
	v_mul_f64 v[42:43], v[42:43], 0.5
	v_fma_f64 v[46:47], -v[42:43], v[44:45], 0.5
	v_fma_f64 v[44:45], v[44:45], v[46:47], v[44:45]
	v_fma_f64 v[42:43], v[42:43], v[46:47], v[42:43]
	v_fma_f64 v[48:49], -v[44:45], v[44:45], v[38:39]
	v_fma_f64 v[44:45], v[48:49], v[42:43], v[44:45]
	v_fma_f64 v[46:47], -v[44:45], v[44:45], v[38:39]
	v_fma_f64 v[42:43], v[46:47], v[42:43], v[44:45]
	v_ldexp_f64 v[42:43], v[42:43], v4
	v_mov_b32_e32 v4, 0x260
	v_cmp_class_f64_e32 vcc, v[38:39], v4
	v_cndmask_b32_e32 v51, v43, v39, vcc
	v_cndmask_b32_e32 v50, v42, v38, vcc
	v_mul_f64 v[38:39], s[44:45], v[57:58]
	v_mul_f64 v[38:39], s[44:45], v[38:39]
	;; [unrolled: 1-line block ×3, first 2 shown]
	v_div_scale_f64 v[42:43], s[0:1], v[38:39], v[38:39], 1.0
	v_rcp_f64_e32 v[44:45], v[42:43]
	v_fma_f64 v[46:47], -v[42:43], v[44:45], 1.0
	v_fma_f64 v[44:45], v[44:45], v[46:47], v[44:45]
	v_fma_f64 v[46:47], -v[42:43], v[44:45], 1.0
	v_fma_f64 v[44:45], v[44:45], v[46:47], v[44:45]
	v_div_scale_f64 v[46:47], vcc, 1.0, v[38:39], 1.0
	v_mul_f64 v[48:49], v[46:47], v[44:45]
	v_fma_f64 v[42:43], -v[42:43], v[48:49], v[46:47]
	s_nop 1
	v_div_fmas_f64 v[42:43], v[42:43], v[44:45], v[48:49]
	v_div_fixup_f64 v[38:39], v[42:43], v[38:39], 1.0
	v_div_scale_f64 v[42:43], s[0:1], s[44:45], s[44:45], v[50:51]
	v_rcp_f64_e32 v[44:45], v[42:43]
	v_fma_f64 v[46:47], -v[42:43], v[44:45], 1.0
	v_fma_f64 v[44:45], v[44:45], v[46:47], v[44:45]
	v_fma_f64 v[46:47], -v[42:43], v[44:45], 1.0
	v_fma_f64 v[44:45], v[44:45], v[46:47], v[44:45]
	v_div_scale_f64 v[46:47], vcc, v[50:51], s[44:45], v[50:51]
	v_mul_f64 v[48:49], v[46:47], v[44:45]
	v_fma_f64 v[42:43], -v[42:43], v[48:49], v[46:47]
	s_nop 1
	v_div_fmas_f64 v[42:43], v[42:43], v[44:45], v[48:49]
	v_mov_b32_e32 v44, 0
	v_mov_b32_e32 v45, 0
	v_div_fixup_f64 v[42:43], v[42:43], s[44:45], v[50:51]
	v_cmp_nle_f64_e64 s[0:1], 2.0, v[42:43]
	s_and_saveexec_b64 s[12:13], s[0:1]
	s_cbranch_execz .LBB1_15
; %bb.8:                                ;   in Loop: Header=BB1_6 Depth=1
	v_cmp_ngt_f64_e32 vcc, 1.0, v[42:43]
                                        ; implicit-def: $vgpr44_vgpr45
	s_and_saveexec_b64 s[2:3], vcc
	s_xor_b64 s[14:15], exec, s[2:3]
	s_cbranch_execz .LBB1_12
; %bb.9:                                ;   in Loop: Header=BB1_6 Depth=1
	v_cmp_le_f64_e32 vcc, 1.0, v[42:43]
	v_cmp_gt_f64_e64 s[2:3], 2.0, v[42:43]
	v_mov_b32_e32 v44, 0
	v_mov_b32_e32 v45, 0
	s_and_b64 s[2:3], vcc, s[2:3]
	s_and_saveexec_b64 s[16:17], s[2:3]
	s_cbranch_execz .LBB1_11
; %bb.10:                               ;   in Loop: Header=BB1_6 Depth=1
	v_add_f64 v[44:45], -v[42:43], 2.0
	v_mov_b32_e32 v8, v57
	v_mov_b32_e32 v9, v58
	s_mov_b32 s2, 0x4222de17
	s_mov_b32 s3, 0x3fbdee67
	;; [unrolled: 1-line block ×5, first 2 shown]
	v_frexp_mant_f64_e64 v[46:47], |v[44:45]|
	v_mov_b32_e32 v10, 0x7ff00000
	v_cmp_gt_f64_e32 vcc, s[36:37], v[46:47]
	v_cndmask_b32_e64 v4, 0, 1, vcc
	v_ldexp_f64 v[46:47], v[46:47], v4
	buffer_load_dword v4, off, s[96:99], 0 offset:16 ; 4-byte Folded Reload
	buffer_load_dword v5, off, s[96:99], 0 offset:20 ; 4-byte Folded Reload
	v_add_f64 v[48:49], v[46:47], 1.0
	v_add_f64 v[60:61], v[46:47], -1.0
	v_rcp_f64_e32 v[52:53], v[48:49]
	v_add_f64 v[62:63], v[48:49], -1.0
	v_add_f64 v[46:47], v[46:47], -v[62:63]
	v_fma_f64 v[54:55], -v[48:49], v[52:53], 1.0
	v_fma_f64 v[52:53], v[54:55], v[52:53], v[52:53]
	v_fma_f64 v[54:55], -v[48:49], v[52:53], 1.0
	v_fma_f64 v[52:53], v[54:55], v[52:53], v[52:53]
	v_mul_f64 v[54:55], v[60:61], v[52:53]
	v_mul_f64 v[57:58], v[48:49], v[54:55]
	v_fma_f64 v[48:49], v[54:55], v[48:49], -v[57:58]
	v_fma_f64 v[46:47], v[54:55], v[46:47], v[48:49]
	v_add_f64 v[48:49], v[57:58], v[46:47]
	v_add_f64 v[62:63], v[60:61], -v[48:49]
	v_add_f64 v[57:58], v[48:49], -v[57:58]
	;; [unrolled: 1-line block ×5, first 2 shown]
	v_add_f64 v[46:47], v[46:47], v[48:49]
	v_add_f64 v[46:47], v[62:63], v[46:47]
	v_mul_f64 v[46:47], v[52:53], v[46:47]
	v_add_f64 v[48:49], v[54:55], v[46:47]
	v_add_f64 v[52:53], v[48:49], -v[54:55]
	v_mul_f64 v[54:55], v[48:49], v[48:49]
	v_add_f64 v[46:47], v[46:47], -v[52:53]
	v_fma_f64 v[52:53], v[48:49], v[48:49], -v[54:55]
	v_add_f64 v[57:58], v[46:47], v[46:47]
	v_fma_f64 v[52:53], v[48:49], v[57:58], v[52:53]
	v_add_f64 v[57:58], v[54:55], v[52:53]
	s_waitcnt vmcnt(0)
	v_fma_f64 v[60:61], v[57:58], s[2:3], v[4:5]
	s_mov_b32 s2, 0x3abe935a
	s_mov_b32 s3, 0x3fbe25e4
	v_add_f64 v[54:55], v[57:58], -v[54:55]
	v_mul_f64 v[28:29], v[48:49], v[57:58]
	v_frexp_exp_i32_f64_e32 v4, v[44:45]
	v_fma_f64 v[60:61], v[57:58], v[60:61], s[2:3]
	s_mov_b32 s2, 0x47e6c9c2
	s_mov_b32 s3, 0x3fc110ef
	v_add_f64 v[52:53], v[52:53], -v[54:55]
	v_subbrev_co_u32_e32 v4, vcc, 0, v4, vcc
	v_cmp_eq_f64_e32 vcc, 1.0, v[44:45]
	v_fma_f64 v[60:61], v[57:58], v[60:61], s[2:3]
	s_mov_b32 s2, 0xcfa74449
	s_mov_b32 s3, 0x3fc3b13b
	v_cndmask_b32_e32 v25, 2.0, v59, vcc
	v_fma_f64 v[60:61], v[57:58], v[60:61], s[2:3]
	s_mov_b32 s2, 0x71bf3c30
	s_mov_b32 s3, 0x3fc745d1
	v_fma_f64 v[60:61], v[57:58], v[60:61], s[2:3]
	s_mov_b32 s2, 0x1c7792ce
	s_mov_b32 s3, 0x3fcc71c7
	v_fma_f64 v[60:61], v[57:58], v[60:61], s[2:3]
	v_fma_f64 v[60:61], v[57:58], v[60:61], s[50:51]
	;; [unrolled: 1-line block ×3, first 2 shown]
	v_mul_f64 v[62:63], v[57:58], v[60:61]
	v_fma_f64 v[54:55], v[57:58], v[60:61], -v[62:63]
	v_fma_f64 v[54:55], v[52:53], v[60:61], v[54:55]
	v_add_f64 v[60:61], v[62:63], v[54:55]
	v_add_f64 v[20:21], v[60:61], s[36:37]
	v_add_f64 v[62:63], v[60:61], -v[62:63]
	v_add_f64 v[30:31], v[20:21], s[58:59]
	v_add_f64 v[54:55], v[54:55], -v[62:63]
	v_fma_f64 v[62:63], v[57:58], v[48:49], -v[28:29]
	v_add_f64 v[30:31], v[60:61], -v[30:31]
	v_add_f64 v[54:55], v[54:55], s[60:61]
	v_fma_f64 v[57:58], v[57:58], v[46:47], v[62:63]
	v_ldexp_f64 v[46:47], v[46:47], 1
	v_add_f64 v[30:31], v[54:55], v[30:31]
	v_fma_f64 v[52:53], v[52:53], v[48:49], v[57:58]
	v_add_f64 v[54:55], v[20:21], v[30:31]
	v_add_f64 v[57:58], v[28:29], v[52:53]
	v_add_f64 v[20:21], v[20:21], -v[54:55]
	v_mul_f64 v[60:61], v[57:58], v[54:55]
	v_add_f64 v[28:29], v[57:58], -v[28:29]
	v_add_f64 v[20:21], v[30:31], v[20:21]
	v_fma_f64 v[30:31], v[57:58], v[54:55], -v[60:61]
	v_add_f64 v[28:29], v[52:53], -v[28:29]
	v_fma_f64 v[20:21], v[57:58], v[20:21], v[30:31]
	v_fma_f64 v[20:21], v[28:29], v[54:55], v[20:21]
	v_ldexp_f64 v[28:29], v[48:49], 1
	v_cvt_f64_i32_e32 v[54:55], v4
	buffer_load_dword v4, off, s[96:99], 0 offset:24 ; 4-byte Folded Reload
	buffer_load_dword v5, off, s[96:99], 0 offset:28 ; 4-byte Folded Reload
	v_mul_f64 v[57:58], v[54:55], s[54:55]
	v_add_f64 v[30:31], v[60:61], v[20:21]
	v_add_f64 v[48:49], v[28:29], v[30:31]
	v_add_f64 v[52:53], v[30:31], -v[60:61]
	v_add_f64 v[28:29], v[48:49], -v[28:29]
	v_add_f64 v[20:21], v[20:21], -v[52:53]
	v_fma_f64 v[52:53], v[54:55], s[54:55], -v[57:58]
	v_add_f64 v[28:29], v[30:31], -v[28:29]
	v_add_f64 v[20:21], v[46:47], v[20:21]
	v_fma_f64 v[30:31], v[54:55], s[56:57], v[52:53]
	v_add_f64 v[20:21], v[20:21], v[28:29]
	v_add_f64 v[28:29], v[57:58], v[30:31]
	;; [unrolled: 1-line block ×3, first 2 shown]
	v_add_f64 v[57:58], v[28:29], -v[57:58]
	v_add_f64 v[52:53], v[28:29], v[46:47]
	v_add_f64 v[48:49], v[46:47], -v[48:49]
	v_add_f64 v[30:31], v[30:31], -v[57:58]
	v_mul_f64 v[57:58], s[44:45], 4.0
	v_add_f64 v[54:55], v[52:53], -v[28:29]
	v_add_f64 v[20:21], v[20:21], -v[48:49]
	;; [unrolled: 1-line block ×4, first 2 shown]
	v_add_f64 v[48:49], v[30:31], v[20:21]
	v_add_f64 v[28:29], v[28:29], -v[60:61]
	v_add_f64 v[28:29], v[46:47], v[28:29]
	v_add_f64 v[46:47], v[48:49], -v[30:31]
	;; [unrolled: 2-line block ×3, first 2 shown]
	v_add_f64 v[20:21], v[20:21], -v[46:47]
	v_add_f64 v[54:55], v[52:53], v[28:29]
	v_add_f64 v[30:31], v[30:31], -v[48:49]
	v_add_f64 v[46:47], v[54:55], -v[52:53]
	v_add_f64 v[20:21], v[20:21], v[30:31]
	v_add_f64 v[28:29], v[28:29], -v[46:47]
	v_add_f64 v[20:21], v[20:21], v[28:29]
	v_add_f64 v[28:29], v[54:55], v[20:21]
	v_add_f64 v[30:31], v[28:29], -v[54:55]
	v_mul_f64 v[48:49], v[24:25], v[28:29]
	v_add_f64 v[20:21], v[20:21], -v[30:31]
	v_fma_f64 v[28:29], v[24:25], v[28:29], -v[48:49]
	v_cmp_class_f64_e64 vcc, v[48:49], s48
	v_fma_f64 v[20:21], v[24:25], v[20:21], v[28:29]
	v_add_f64 v[28:29], v[48:49], v[20:21]
	v_cndmask_b32_e32 v31, v29, v49, vcc
	v_cndmask_b32_e32 v30, v28, v48, vcc
	v_mul_f64 v[46:47], v[30:31], s[64:65]
	v_add_f64 v[28:29], v[28:29], -v[48:49]
	v_cmp_nlt_f64_e64 s[4:5], s[88:89], v[30:31]
	v_cmp_ngt_f64_e64 s[6:7], s[90:91], v[30:31]
	v_rndne_f64_e32 v[52:53], v[46:47]
	v_add_f64 v[20:21], v[20:21], -v[28:29]
	v_fma_f64 v[46:47], v[52:53], s[66:67], v[30:31]
	v_fma_f64 v[54:55], v[52:53], s[68:69], v[46:47]
	s_waitcnt vmcnt(0)
	v_fma_f64 v[46:47], v[54:55], s[70:71], v[4:5]
	v_fma_f64 v[46:47], v[54:55], v[46:47], s[72:73]
	;; [unrolled: 1-line block ×3, first 2 shown]
	v_mul_f64 v[46:47], v[50:51], v[57:58]
	v_fma_f64 v[57:58], v[54:55], v[60:61], s[76:77]
	v_div_scale_f64 v[60:61], s[2:3], v[46:47], v[46:47], s[34:35]
	v_div_scale_f64 v[6:7], vcc, s[34:35], v[46:47], s[34:35]
	v_cmp_neq_f64_e64 s[2:3], |v[30:31]|, s[62:63]
	v_fma_f64 v[57:58], v[54:55], v[57:58], s[78:79]
	v_cndmask_b32_e64 v21, 0, v21, s[2:3]
	v_cndmask_b32_e64 v20, 0, v20, s[2:3]
	s_and_b64 s[2:3], s[6:7], s[4:5]
	v_fma_f64 v[57:58], v[54:55], v[57:58], s[80:81]
	v_rcp_f64_e32 v[62:63], v[60:61]
	v_fma_f64 v[57:58], v[54:55], v[57:58], s[82:83]
	v_fma_f64 v[57:58], v[54:55], v[57:58], s[84:85]
	v_fma_f64 v[4:5], -v[60:61], v[62:63], 1.0
	v_fma_f64 v[57:58], v[54:55], v[57:58], s[86:87]
	v_fma_f64 v[4:5], v[62:63], v[4:5], v[62:63]
	v_fma_f64 v[57:58], v[54:55], v[57:58], 1.0
	v_fma_f64 v[62:63], -v[60:61], v[4:5], 1.0
	v_fma_f64 v[54:55], v[54:55], v[57:58], 1.0
	v_fma_f64 v[4:5], v[4:5], v[62:63], v[4:5]
	v_mov_b32_e32 v58, v9
	v_mov_b32_e32 v57, v8
	v_cvt_i32_f64_e32 v8, v[52:53]
	v_mul_f64 v[52:53], v[24:25], 0.5
	v_ldexp_f64 v[48:49], v[54:55], v8
	v_mul_f64 v[54:55], v[6:7], v[4:5]
	v_trunc_f64_e32 v[28:29], v[52:53]
	v_cndmask_b32_e64 v8, v10, v49, s[4:5]
	v_fma_f64 v[6:7], -v[60:61], v[54:55], v[6:7]
	buffer_load_dword v60, off, s[96:99], 0 offset:32 ; 4-byte Folded Reload
	buffer_load_dword v61, off, s[96:99], 0 offset:36 ; 4-byte Folded Reload
	;; [unrolled: 1-line block ×6, first 2 shown]
	v_cndmask_b32_e64 v30, 0, v48, s[2:3]
	v_trunc_f64_e32 v[48:49], v[24:25]
	v_cndmask_b32_e64 v31, 0, v8, s[6:7]
	v_fma_f64 v[20:21], v[30:31], v[20:21], v[30:31]
	v_cmp_neq_f64_e64 s[2:3], v[28:29], v[52:53]
	v_div_fmas_f64 v[4:5], v[6:7], v[4:5], v[54:55]
	v_cmp_class_f64_e64 vcc, v[30:31], s48
	v_cmp_class_f64_e64 s[6:7], v[44:45], s48
	v_cmp_eq_f64_e64 s[4:5], v[48:49], v[24:25]
	v_cndmask_b32_e32 v6, v20, v30, vcc
	v_cndmask_b32_e32 v7, v21, v31, vcc
	s_and_b64 vcc, s[4:5], s[2:3]
	v_cndmask_b32_e32 v9, v59, v45, vcc
	v_bfi_b32 v7, s49, v7, v9
	v_mov_b32_e32 v9, 0x7ff80000
	v_cndmask_b32_e64 v8, 0, v6, s[4:5]
	v_cndmask_b32_e64 v9, v9, v7, s[4:5]
	v_cmp_eq_f64_e64 s[4:5], 0, v[44:45]
	v_cmp_gt_f64_e64 s[2:3], 0, v[44:45]
	v_div_fixup_f64 v[4:5], v[4:5], v[46:47], s[34:35]
	v_cndmask_b32_e32 v11, 0, v45, vcc
	v_cndmask_b32_e64 v10, v10, 0, s[4:5]
	v_bfi_b32 v10, s49, v10, v11
	v_cndmask_b32_e64 v7, v7, v9, s[2:3]
	v_cndmask_b32_e64 v6, v6, v8, s[2:3]
	s_or_b64 vcc, s[4:5], s[6:7]
	v_cndmask_b32_e64 v6, v6, 0, vcc
	v_cndmask_b32_e32 v7, v7, v10, vcc
	v_mul_f64 v[44:45], v[4:5], v[6:7]
.LBB1_11:                               ;   in Loop: Header=BB1_6 Depth=1
	s_or_b64 exec, exec, s[16:17]
.LBB1_12:                               ;   in Loop: Header=BB1_6 Depth=1
	s_andn2_saveexec_b64 s[2:3], s[14:15]
	s_cbranch_execz .LBB1_14
; %bb.13:                               ;   in Loop: Header=BB1_6 Depth=1
	v_mul_f64 v[44:45], s[44:45], s[44:45]
	v_div_scale_f64 v[46:47], s[4:5], v[44:45], v[44:45], -1.0
	v_rcp_f64_e32 v[48:49], v[46:47]
	v_fma_f64 v[52:53], -v[46:47], v[48:49], 1.0
	v_fma_f64 v[48:49], v[48:49], v[52:53], v[48:49]
	v_div_scale_f64 v[52:53], vcc, -1.0, v[44:45], -1.0
	v_fma_f64 v[54:55], -v[46:47], v[48:49], 1.0
	v_fma_f64 v[48:49], v[48:49], v[54:55], v[48:49]
	v_mul_f64 v[54:55], v[52:53], v[48:49]
	v_fma_f64 v[46:47], -v[46:47], v[54:55], v[52:53]
	v_div_fmas_f64 v[46:47], v[46:47], v[48:49], v[54:55]
	v_mov_b32_e32 v48, s92
	v_mov_b32_e32 v49, s93
	v_div_fixup_f64 v[44:45], v[46:47], v[44:45], -1.0
	v_fma_f64 v[46:47], v[42:43], s[94:95], v[48:49]
	v_mul_f64 v[44:45], v[44:45], v[46:47]
.LBB1_14:                               ;   in Loop: Header=BB1_6 Depth=1
	s_or_b64 exec, exec, s[2:3]
	v_mul_f64 v[44:45], v[38:39], v[44:45]
.LBB1_15:                               ;   in Loop: Header=BB1_6 Depth=1
	s_or_b64 exec, exec, s[12:13]
	v_mul_f64 v[4:5], s[8:9], s[8:9]
	v_div_scale_f64 v[6:7], s[2:3], v[4:5], v[4:5], s[10:11]
	v_rcp_f64_e32 v[20:21], v[6:7]
	v_fma_f64 v[28:29], -v[6:7], v[20:21], 1.0
	v_fma_f64 v[20:21], v[20:21], v[28:29], v[20:21]
	v_div_scale_f64 v[28:29], vcc, s[10:11], v[4:5], s[10:11]
	v_fma_f64 v[30:31], -v[6:7], v[20:21], 1.0
	v_fma_f64 v[20:21], v[20:21], v[30:31], v[20:21]
	v_mul_f64 v[30:31], v[28:29], v[20:21]
	v_fma_f64 v[6:7], -v[6:7], v[30:31], v[28:29]
	v_add_f64 v[28:29], v[14:15], -s[22:23]
	v_div_fmas_f64 v[6:7], v[6:7], v[20:21], v[30:31]
	v_add_f64 v[20:21], v[18:19], -s[18:19]
	v_div_fixup_f64 v[4:5], v[6:7], v[4:5], s[10:11]
	v_add_f64 v[6:7], v[12:13], -s[20:21]
	s_waitcnt vmcnt(0)
	v_add_f64 v[4:5], v[62:63], v[4:5]
	v_mul_f64 v[6:7], v[34:35], v[6:7]
	v_mul_f64 v[4:5], v[4:5], s[42:43]
	v_fma_f64 v[6:7], v[32:33], v[20:21], v[6:7]
	v_mul_f64 v[4:5], v[4:5], -v[44:45]
	v_fma_f64 v[52:53], v[36:37], v[28:29], v[6:7]
	v_mul_f64 v[48:49], v[32:33], v[4:5]
	v_mul_f64 v[46:47], v[34:35], v[4:5]
	;; [unrolled: 1-line block ×3, first 2 shown]
	v_cmp_gt_f64_e32 vcc, 0, v[52:53]
	s_and_saveexec_b64 s[10:11], vcc
	s_cbranch_execz .LBB1_25
; %bb.16:                               ;   in Loop: Header=BB1_6 Depth=1
	v_mov_b32_e32 v54, 0
	v_mov_b32_e32 v55, 0
	s_and_saveexec_b64 s[12:13], s[0:1]
	s_cbranch_execz .LBB1_24
; %bb.17:                               ;   in Loop: Header=BB1_6 Depth=1
	v_cmp_ngt_f64_e32 vcc, 1.0, v[42:43]
                                        ; implicit-def: $vgpr54_vgpr55
	s_and_saveexec_b64 s[2:3], vcc
	s_xor_b64 s[14:15], exec, s[2:3]
	s_cbranch_execz .LBB1_21
; %bb.18:                               ;   in Loop: Header=BB1_6 Depth=1
	v_cmp_le_f64_e32 vcc, 1.0, v[42:43]
	v_cmp_gt_f64_e64 s[2:3], 2.0, v[42:43]
	v_mov_b32_e32 v54, 0
	v_mov_b32_e32 v55, 0
	s_and_b64 s[2:3], vcc, s[2:3]
	s_and_saveexec_b64 s[16:17], s[2:3]
	s_cbranch_execz .LBB1_20
; %bb.19:                               ;   in Loop: Header=BB1_6 Depth=1
	v_add_f64 v[54:55], -v[42:43], 2.0
	buffer_store_dword v57, off, s[96:99], 0 offset:64 ; 4-byte Folded Spill
	s_nop 0
	buffer_store_dword v58, off, s[96:99], 0 offset:68 ; 4-byte Folded Spill
	buffer_load_dword v8, off, s[96:99], 0 offset:16 ; 4-byte Folded Reload
	buffer_load_dword v9, off, s[96:99], 0 offset:20 ; 4-byte Folded Reload
	s_mov_b32 s2, 0x4222de17
	s_mov_b32 s3, 0x3fbdee67
	;; [unrolled: 1-line block ×5, first 2 shown]
	v_frexp_mant_f64_e64 v[4:5], |v[54:55]|
	v_cmp_gt_f64_e32 vcc, s[36:37], v[4:5]
	v_cndmask_b32_e64 v6, 0, 1, vcc
	v_ldexp_f64 v[4:5], v[4:5], v6
	v_add_f64 v[6:7], v[4:5], 1.0
	v_add_f64 v[30:31], v[4:5], -1.0
	v_rcp_f64_e32 v[20:21], v[6:7]
	v_add_f64 v[57:58], v[6:7], -1.0
	v_add_f64 v[4:5], v[4:5], -v[57:58]
	v_fma_f64 v[28:29], -v[6:7], v[20:21], 1.0
	v_fma_f64 v[20:21], v[28:29], v[20:21], v[20:21]
	v_fma_f64 v[28:29], -v[6:7], v[20:21], 1.0
	v_fma_f64 v[20:21], v[28:29], v[20:21], v[20:21]
	v_mul_f64 v[28:29], v[30:31], v[20:21]
	v_mul_f64 v[60:61], v[6:7], v[28:29]
	v_fma_f64 v[6:7], v[28:29], v[6:7], -v[60:61]
	v_fma_f64 v[4:5], v[28:29], v[4:5], v[6:7]
	v_add_f64 v[6:7], v[60:61], v[4:5]
	v_add_f64 v[57:58], v[30:31], -v[6:7]
	v_add_f64 v[60:61], v[6:7], -v[60:61]
	;; [unrolled: 1-line block ×5, first 2 shown]
	v_add_f64 v[4:5], v[4:5], v[6:7]
	v_add_f64 v[4:5], v[57:58], v[4:5]
	v_mul_f64 v[4:5], v[20:21], v[4:5]
	v_add_f64 v[6:7], v[28:29], v[4:5]
	v_add_f64 v[20:21], v[6:7], -v[28:29]
	v_mul_f64 v[28:29], v[6:7], v[6:7]
	v_add_f64 v[4:5], v[4:5], -v[20:21]
	v_fma_f64 v[20:21], v[6:7], v[6:7], -v[28:29]
	v_add_f64 v[30:31], v[4:5], v[4:5]
	v_fma_f64 v[20:21], v[6:7], v[30:31], v[20:21]
	v_add_f64 v[30:31], v[28:29], v[20:21]
	s_waitcnt vmcnt(0)
	v_fma_f64 v[57:58], v[30:31], s[2:3], v[8:9]
	s_mov_b32 s2, 0x3abe935a
	s_mov_b32 s3, 0x3fbe25e4
	v_add_f64 v[28:29], v[30:31], -v[28:29]
	v_mul_f64 v[25:26], v[6:7], v[30:31]
	v_fma_f64 v[57:58], v[30:31], v[57:58], s[2:3]
	s_mov_b32 s2, 0x47e6c9c2
	s_mov_b32 s3, 0x3fc110ef
	v_add_f64 v[20:21], v[20:21], -v[28:29]
	v_fma_f64 v[57:58], v[30:31], v[57:58], s[2:3]
	s_mov_b32 s2, 0xcfa74449
	s_mov_b32 s3, 0x3fc3b13b
	v_fma_f64 v[57:58], v[30:31], v[57:58], s[2:3]
	s_mov_b32 s2, 0x71bf3c30
	s_mov_b32 s3, 0x3fc745d1
	;; [unrolled: 3-line block ×3, first 2 shown]
	v_fma_f64 v[57:58], v[30:31], v[57:58], s[2:3]
	v_fma_f64 v[57:58], v[30:31], v[57:58], s[50:51]
	;; [unrolled: 1-line block ×3, first 2 shown]
	v_mul_f64 v[60:61], v[30:31], v[57:58]
	v_fma_f64 v[28:29], v[30:31], v[57:58], -v[60:61]
	v_fma_f64 v[28:29], v[20:21], v[57:58], v[28:29]
	v_add_f64 v[57:58], v[60:61], v[28:29]
	v_add_f64 v[62:63], v[57:58], s[36:37]
	v_add_f64 v[60:61], v[57:58], -v[60:61]
	v_add_f64 v[8:9], v[62:63], s[58:59]
	v_add_f64 v[10:11], v[28:29], -v[60:61]
	v_fma_f64 v[27:28], v[30:31], v[6:7], -v[25:26]
	v_add_f64 v[8:9], v[57:58], -v[8:9]
	v_add_f64 v[10:11], v[10:11], s[60:61]
	v_fma_f64 v[27:28], v[30:31], v[4:5], v[27:28]
	v_ldexp_f64 v[4:5], v[4:5], 1
	v_add_f64 v[8:9], v[10:11], v[8:9]
	v_fma_f64 v[10:11], v[20:21], v[6:7], v[27:28]
	v_ldexp_f64 v[6:7], v[6:7], 1
	v_add_f64 v[20:21], v[62:63], v[8:9]
	v_add_f64 v[27:28], v[25:26], v[10:11]
	v_add_f64 v[29:30], v[62:63], -v[20:21]
	v_mul_f64 v[57:58], v[27:28], v[20:21]
	v_add_f64 v[25:26], v[27:28], -v[25:26]
	v_add_f64 v[8:9], v[8:9], v[29:30]
	v_fma_f64 v[29:30], v[27:28], v[20:21], -v[57:58]
	v_add_f64 v[10:11], v[10:11], -v[25:26]
	v_fma_f64 v[8:9], v[27:28], v[8:9], v[29:30]
	v_fma_f64 v[8:9], v[10:11], v[20:21], v[8:9]
	v_frexp_exp_i32_f64_e32 v20, v[54:55]
	v_add_f64 v[10:11], v[57:58], v[8:9]
	v_subbrev_co_u32_e32 v27, vcc, 0, v20, vcc
	v_cvt_f64_i32_e32 v[27:28], v27
	v_cmp_eq_f64_e32 vcc, 1.0, v[54:55]
	v_mul_f64 v[29:30], v[27:28], s[54:55]
	v_add_f64 v[20:21], v[6:7], v[10:11]
	v_add_f64 v[25:26], v[10:11], -v[57:58]
	v_add_f64 v[6:7], v[20:21], -v[6:7]
	;; [unrolled: 1-line block ×3, first 2 shown]
	v_fma_f64 v[25:26], v[27:28], s[54:55], -v[29:30]
	v_add_f64 v[6:7], v[10:11], -v[6:7]
	v_add_f64 v[4:5], v[4:5], v[8:9]
	v_fma_f64 v[8:9], v[27:28], s[56:57], v[25:26]
	v_add_f64 v[4:5], v[4:5], v[6:7]
	v_add_f64 v[6:7], v[29:30], v[8:9]
	;; [unrolled: 1-line block ×3, first 2 shown]
	v_add_f64 v[29:30], v[6:7], -v[29:30]
	v_add_f64 v[25:26], v[6:7], v[10:11]
	v_add_f64 v[20:21], v[10:11], -v[20:21]
	v_add_f64 v[8:9], v[8:9], -v[29:30]
	v_mul_f64 v[30:31], s[44:45], 4.0
	v_add_f64 v[27:28], v[25:26], -v[6:7]
	v_add_f64 v[4:5], v[4:5], -v[20:21]
	v_mul_f64 v[50:51], v[50:51], v[30:31]
	v_add_f64 v[57:58], v[25:26], -v[27:28]
	v_add_f64 v[10:11], v[10:11], -v[27:28]
	v_add_f64 v[20:21], v[8:9], v[4:5]
	v_div_scale_f64 v[30:31], s[2:3], v[50:51], v[50:51], s[34:35]
	v_add_f64 v[6:7], v[6:7], -v[57:58]
	v_add_f64 v[6:7], v[10:11], v[6:7]
	v_add_f64 v[10:11], v[20:21], -v[8:9]
	v_rcp_f64_e32 v[57:58], v[30:31]
	v_add_f64 v[6:7], v[20:21], v[6:7]
	v_add_f64 v[20:21], v[20:21], -v[10:11]
	v_add_f64 v[4:5], v[4:5], -v[10:11]
	v_add_f64 v[27:28], v[25:26], v[6:7]
	v_add_f64 v[8:9], v[8:9], -v[20:21]
	v_fma_f64 v[60:61], -v[30:31], v[57:58], 1.0
	v_add_f64 v[10:11], v[27:28], -v[25:26]
	v_add_f64 v[4:5], v[4:5], v[8:9]
	v_cndmask_b32_e32 v25, 2.0, v59, vcc
	v_fma_f64 v[57:58], v[57:58], v[60:61], v[57:58]
	v_add_f64 v[6:7], v[6:7], -v[10:11]
	v_fma_f64 v[60:61], -v[30:31], v[57:58], 1.0
	v_add_f64 v[4:5], v[4:5], v[6:7]
	v_add_f64 v[6:7], v[27:28], v[4:5]
	v_add_f64 v[8:9], v[6:7], -v[27:28]
	buffer_load_dword v28, off, s[96:99], 0 offset:24 ; 4-byte Folded Reload
	buffer_load_dword v29, off, s[96:99], 0 offset:28 ; 4-byte Folded Reload
	v_mul_f64 v[10:11], v[24:25], v[6:7]
	v_add_f64 v[4:5], v[4:5], -v[8:9]
	v_fma_f64 v[6:7], v[24:25], v[6:7], -v[10:11]
	v_cmp_class_f64_e64 vcc, v[10:11], s48
	v_fma_f64 v[4:5], v[24:25], v[4:5], v[6:7]
	v_add_f64 v[6:7], v[10:11], v[4:5]
	v_cndmask_b32_e32 v9, v7, v11, vcc
	v_cndmask_b32_e32 v8, v6, v10, vcc
	v_mul_f64 v[20:21], v[8:9], s[64:65]
	v_div_scale_f64 v[62:63], vcc, s[34:35], v[50:51], s[34:35]
	v_add_f64 v[6:7], v[6:7], -v[10:11]
	v_cmp_neq_f64_e64 s[2:3], |v[8:9]|, s[62:63]
	v_cmp_nlt_f64_e64 s[4:5], s[88:89], v[8:9]
	v_cmp_ngt_f64_e64 s[6:7], s[90:91], v[8:9]
	v_rndne_f64_e32 v[20:21], v[20:21]
	v_add_f64 v[4:5], v[4:5], -v[6:7]
	v_fma_f64 v[26:27], v[20:21], s[66:67], v[8:9]
	v_cndmask_b32_e64 v5, 0, v5, s[2:3]
	v_cndmask_b32_e64 v4, 0, v4, s[2:3]
	s_and_b64 s[2:3], s[6:7], s[4:5]
	v_fma_f64 v[26:27], v[20:21], s[68:69], v[26:27]
	v_cvt_i32_f64_e32 v20, v[20:21]
	s_waitcnt vmcnt(0)
	v_fma_f64 v[28:29], v[26:27], s[70:71], v[28:29]
	v_fma_f64 v[28:29], v[26:27], v[28:29], s[72:73]
	;; [unrolled: 1-line block ×9, first 2 shown]
	v_fma_f64 v[28:29], v[26:27], v[28:29], 1.0
	v_fma_f64 v[26:27], v[26:27], v[28:29], 1.0
	v_fma_f64 v[28:29], v[57:58], v[60:61], v[57:58]
	v_mov_b32_e32 v57, 0x7ff00000
	v_ldexp_f64 v[10:11], v[26:27], v20
	v_mul_f64 v[20:21], v[24:25], 0.5
	v_mul_f64 v[26:27], v[62:63], v[28:29]
	v_cndmask_b32_e64 v11, v57, v11, s[4:5]
	v_trunc_f64_e32 v[6:7], v[20:21]
	v_fma_f64 v[8:9], -v[30:31], v[26:27], v[62:63]
	v_trunc_f64_e32 v[30:31], v[24:25]
	v_cndmask_b32_e64 v11, 0, v11, s[6:7]
	v_cndmask_b32_e64 v10, 0, v10, s[2:3]
	v_fma_f64 v[4:5], v[10:11], v[4:5], v[10:11]
	buffer_load_dword v60, off, s[96:99], 0 offset:32 ; 4-byte Folded Reload
	buffer_load_dword v61, off, s[96:99], 0 offset:36 ; 4-byte Folded Reload
	;; [unrolled: 1-line block ×6, first 2 shown]
	v_cmp_neq_f64_e64 s[2:3], v[6:7], v[20:21]
	v_div_fmas_f64 v[6:7], v[8:9], v[28:29], v[26:27]
	v_cmp_class_f64_e64 vcc, v[10:11], s48
	v_cmp_eq_f64_e64 s[4:5], v[30:31], v[24:25]
	v_cmp_class_f64_e64 s[6:7], v[54:55], s48
	v_cndmask_b32_e32 v8, v4, v10, vcc
	v_cndmask_b32_e32 v4, v5, v11, vcc
	s_and_b64 vcc, s[4:5], s[2:3]
	v_cndmask_b32_e32 v5, v59, v55, vcc
	v_bfi_b32 v10, s49, v4, v5
	v_mov_b32_e32 v4, 0x7ff80000
	v_cndmask_b32_e64 v9, 0, v8, s[4:5]
	v_cndmask_b32_e64 v11, v4, v10, s[4:5]
	v_cmp_eq_f64_e64 s[4:5], 0, v[54:55]
	v_cmp_gt_f64_e64 s[2:3], 0, v[54:55]
	v_div_fixup_f64 v[4:5], v[6:7], v[50:51], s[34:35]
	v_cndmask_b32_e32 v6, 0, v55, vcc
	v_cndmask_b32_e64 v20, v57, 0, s[4:5]
	buffer_load_dword v57, off, s[96:99], 0 offset:64 ; 4-byte Folded Reload
	buffer_load_dword v58, off, s[96:99], 0 offset:68 ; 4-byte Folded Reload
	v_bfi_b32 v7, s49, v20, v6
	v_cndmask_b32_e64 v10, v10, v11, s[2:3]
	v_cndmask_b32_e64 v6, v8, v9, s[2:3]
	s_or_b64 vcc, s[4:5], s[6:7]
	v_cndmask_b32_e64 v6, v6, 0, vcc
	v_cndmask_b32_e32 v7, v10, v7, vcc
	v_mul_f64 v[54:55], v[4:5], v[6:7]
.LBB1_20:                               ;   in Loop: Header=BB1_6 Depth=1
	s_or_b64 exec, exec, s[16:17]
.LBB1_21:                               ;   in Loop: Header=BB1_6 Depth=1
	s_andn2_saveexec_b64 s[2:3], s[14:15]
	s_cbranch_execz .LBB1_23
; %bb.22:                               ;   in Loop: Header=BB1_6 Depth=1
	v_mul_f64 v[4:5], s[44:45], s[44:45]
	v_div_scale_f64 v[6:7], s[4:5], v[4:5], v[4:5], -1.0
	v_rcp_f64_e32 v[20:21], v[6:7]
	v_fma_f64 v[28:29], -v[6:7], v[20:21], 1.0
	v_fma_f64 v[20:21], v[20:21], v[28:29], v[20:21]
	v_div_scale_f64 v[28:29], vcc, -1.0, v[4:5], -1.0
	v_fma_f64 v[30:31], -v[6:7], v[20:21], 1.0
	v_fma_f64 v[20:21], v[20:21], v[30:31], v[20:21]
	v_mul_f64 v[30:31], v[28:29], v[20:21]
	v_fma_f64 v[6:7], -v[6:7], v[30:31], v[28:29]
	v_div_fmas_f64 v[6:7], v[6:7], v[20:21], v[30:31]
	v_mov_b32_e32 v20, s92
	v_mov_b32_e32 v21, s93
	v_div_fixup_f64 v[4:5], v[6:7], v[4:5], -1.0
	v_fma_f64 v[6:7], v[42:43], s[94:95], v[20:21]
	v_mul_f64 v[54:55], v[4:5], v[6:7]
.LBB1_23:                               ;   in Loop: Header=BB1_6 Depth=1
	s_or_b64 exec, exec, s[2:3]
	v_mul_f64 v[54:55], v[38:39], v[54:55]
.LBB1_24:                               ;   in Loop: Header=BB1_6 Depth=1
	s_or_b64 exec, exec, s[12:13]
	v_add_f64 v[4:5], s[24:25], s[24:25]
	s_waitcnt vmcnt(6)
	v_add_f64 v[6:7], v[60:61], s[8:9]
	v_mul_f64 v[4:5], s[44:45], v[4:5]
	v_mul_f64 v[4:5], s[46:47], v[4:5]
	v_div_scale_f64 v[8:9], s[2:3], v[6:7], v[6:7], v[4:5]
	v_rcp_f64_e32 v[10:11], v[8:9]
	v_fma_f64 v[20:21], -v[8:9], v[10:11], 1.0
	v_fma_f64 v[10:11], v[10:11], v[20:21], v[10:11]
	v_fma_f64 v[20:21], -v[8:9], v[10:11], 1.0
	v_fma_f64 v[10:11], v[10:11], v[20:21], v[10:11]
	v_div_scale_f64 v[20:21], vcc, v[4:5], v[6:7], v[4:5]
	v_mul_f64 v[25:26], v[20:21], v[10:11]
	v_fma_f64 v[8:9], -v[8:9], v[25:26], v[20:21]
	s_nop 1
	v_div_fmas_f64 v[8:9], v[8:9], v[10:11], v[25:26]
	v_div_fixup_f64 v[4:5], v[8:9], v[6:7], v[4:5]
	v_mov_b32_e32 v6, s44
	v_mov_b32_e32 v7, s45
	v_div_scale_f64 v[8:9], s[2:3], s[38:39], s[38:39], v[6:7]
	v_mul_f64 v[4:5], v[52:53], v[4:5]
	v_rcp_f64_e32 v[10:11], v[8:9]
	v_fma_f64 v[20:21], -v[8:9], v[10:11], 1.0
	v_fma_f64 v[10:11], v[10:11], v[20:21], v[10:11]
	v_fma_f64 v[20:21], -v[8:9], v[10:11], 1.0
	v_fma_f64 v[10:11], v[10:11], v[20:21], v[10:11]
	v_mov_b32_e32 v20, s38
	v_mov_b32_e32 v21, s39
	v_div_scale_f64 v[20:21], vcc, s[44:45], v[20:21], s[44:45]
	v_mul_f64 v[25:26], v[20:21], v[10:11]
	v_fma_f64 v[8:9], -v[8:9], v[25:26], v[20:21]
	s_nop 1
	v_div_fmas_f64 v[8:9], v[8:9], v[10:11], v[25:26]
	v_div_fixup_f64 v[6:7], v[8:9], s[38:39], v[6:7]
	v_mul_f64 v[6:7], s[44:45], v[6:7]
	v_fma_f64 v[6:7], s[44:45], v[6:7], v[40:41]
	v_div_scale_f64 v[8:9], s[2:3], v[6:7], v[6:7], v[4:5]
	v_rcp_f64_e32 v[10:11], v[8:9]
	v_fma_f64 v[20:21], -v[8:9], v[10:11], 1.0
	v_fma_f64 v[10:11], v[10:11], v[20:21], v[10:11]
	v_fma_f64 v[20:21], -v[8:9], v[10:11], 1.0
	v_fma_f64 v[10:11], v[10:11], v[20:21], v[10:11]
	v_div_scale_f64 v[20:21], vcc, v[4:5], v[6:7], v[4:5]
	v_mul_f64 v[25:26], v[20:21], v[10:11]
	v_fma_f64 v[8:9], -v[8:9], v[25:26], v[20:21]
	s_nop 1
	v_div_fmas_f64 v[8:9], v[8:9], v[10:11], v[25:26]
	v_div_fixup_f64 v[4:5], v[8:9], v[6:7], v[4:5]
	v_mul_f64 v[4:5], s[42:43], v[4:5]
	v_mul_f64 v[4:5], v[4:5], v[54:55]
	v_fma_f64 v[48:49], v[32:33], v[4:5], v[48:49]
	v_fma_f64 v[46:47], v[34:35], v[4:5], v[46:47]
	;; [unrolled: 1-line block ×3, first 2 shown]
.LBB1_25:                               ;   in Loop: Header=BB1_6 Depth=1
	s_or_b64 exec, exec, s[10:11]
	v_mov_b32_e32 v40, 0
	v_mov_b32_e32 v41, 0
	s_and_saveexec_b64 s[4:5], s[0:1]
	s_cbranch_execz .LBB1_4
; %bb.26:                               ;   in Loop: Header=BB1_6 Depth=1
	v_cmp_ngt_f64_e32 vcc, 1.0, v[42:43]
                                        ; implicit-def: $vgpr40_vgpr41
	s_and_saveexec_b64 s[0:1], vcc
	s_xor_b64 s[6:7], exec, s[0:1]
	s_cbranch_execz .LBB1_30
; %bb.27:                               ;   in Loop: Header=BB1_6 Depth=1
	v_cmp_le_f64_e32 vcc, 1.0, v[42:43]
	v_cmp_gt_f64_e64 s[0:1], 2.0, v[42:43]
	v_mov_b32_e32 v40, 0
	v_mov_b32_e32 v41, 0
	s_and_b64 s[0:1], vcc, s[0:1]
	s_and_saveexec_b64 s[8:9], s[0:1]
	s_cbranch_execz .LBB1_29
; %bb.28:                               ;   in Loop: Header=BB1_6 Depth=1
	v_add_f64 v[40:41], -v[42:43], 2.0
	s_mov_b32 s0, 0x4222de17
	s_mov_b32 s1, 0x3fbdee67
	s_mov_b32 s58, s36
	s_mov_b32 s66, s54
	s_mov_b32 s68, s56
	v_frexp_mant_f64_e64 v[4:5], |v[40:41]|
	v_cmp_class_f64_e64 s[10:11], v[40:41], s48
	v_cmp_gt_f64_e32 vcc, s[36:37], v[4:5]
	v_cndmask_b32_e64 v6, 0, 1, vcc
	v_ldexp_f64 v[4:5], v[4:5], v6
	v_add_f64 v[6:7], v[4:5], 1.0
	v_add_f64 v[20:21], v[4:5], -1.0
	v_rcp_f64_e32 v[8:9], v[6:7]
	v_add_f64 v[25:26], v[6:7], -1.0
	v_add_f64 v[4:5], v[4:5], -v[25:26]
	v_fma_f64 v[10:11], -v[6:7], v[8:9], 1.0
	v_fma_f64 v[8:9], v[10:11], v[8:9], v[8:9]
	v_fma_f64 v[10:11], -v[6:7], v[8:9], 1.0
	v_fma_f64 v[8:9], v[10:11], v[8:9], v[8:9]
	v_mul_f64 v[10:11], v[20:21], v[8:9]
	v_mul_f64 v[27:28], v[6:7], v[10:11]
	v_fma_f64 v[6:7], v[10:11], v[6:7], -v[27:28]
	v_fma_f64 v[4:5], v[10:11], v[4:5], v[6:7]
	v_add_f64 v[6:7], v[27:28], v[4:5]
	v_add_f64 v[25:26], v[20:21], -v[6:7]
	v_add_f64 v[27:28], v[6:7], -v[27:28]
	v_add_f64 v[20:21], v[20:21], -v[25:26]
	v_add_f64 v[4:5], v[27:28], -v[4:5]
	v_add_f64 v[6:7], v[20:21], -v[6:7]
	v_add_f64 v[4:5], v[4:5], v[6:7]
	v_add_f64 v[4:5], v[25:26], v[4:5]
	buffer_load_dword v25, off, s[96:99], 0 offset:16 ; 4-byte Folded Reload
	buffer_load_dword v26, off, s[96:99], 0 offset:20 ; 4-byte Folded Reload
	v_mul_f64 v[4:5], v[8:9], v[4:5]
	v_add_f64 v[6:7], v[10:11], v[4:5]
	v_add_f64 v[8:9], v[6:7], -v[10:11]
	v_mul_f64 v[10:11], v[6:7], v[6:7]
	v_add_f64 v[4:5], v[4:5], -v[8:9]
	v_fma_f64 v[8:9], v[6:7], v[6:7], -v[10:11]
	v_add_f64 v[20:21], v[4:5], v[4:5]
	v_fma_f64 v[8:9], v[6:7], v[20:21], v[8:9]
	v_add_f64 v[20:21], v[10:11], v[8:9]
	v_add_f64 v[10:11], v[20:21], -v[10:11]
	v_mul_f64 v[42:43], v[6:7], v[20:21]
	v_add_f64 v[8:9], v[8:9], -v[10:11]
	s_waitcnt vmcnt(0)
	v_fma_f64 v[25:26], v[20:21], s[0:1], v[25:26]
	s_mov_b32 s0, 0x3abe935a
	s_mov_b32 s1, 0x3fbe25e4
	v_fma_f64 v[25:26], v[20:21], v[25:26], s[0:1]
	s_mov_b32 s0, 0x47e6c9c2
	s_mov_b32 s1, 0x3fc110ef
	;; [unrolled: 3-line block ×5, first 2 shown]
	v_fma_f64 v[25:26], v[20:21], v[25:26], s[0:1]
	v_fma_f64 v[25:26], v[20:21], v[25:26], s[50:51]
	v_fma_f64 v[25:26], v[20:21], v[25:26], s[52:53]
	v_mul_f64 v[27:28], v[20:21], v[25:26]
	v_fma_f64 v[10:11], v[20:21], v[25:26], -v[27:28]
	v_fma_f64 v[10:11], v[8:9], v[25:26], v[10:11]
	v_add_f64 v[25:26], v[27:28], v[10:11]
	v_add_f64 v[29:30], v[25:26], s[36:37]
	v_add_f64 v[27:28], v[25:26], -v[27:28]
	v_add_f64 v[50:51], v[29:30], s[58:59]
	v_add_f64 v[10:11], v[10:11], -v[27:28]
	v_fma_f64 v[27:28], v[20:21], v[6:7], -v[42:43]
	v_add_f64 v[25:26], v[25:26], -v[50:51]
	v_add_f64 v[10:11], v[10:11], s[60:61]
	v_fma_f64 v[20:21], v[20:21], v[4:5], v[27:28]
	v_ldexp_f64 v[4:5], v[4:5], 1
	v_add_f64 v[10:11], v[10:11], v[25:26]
	v_fma_f64 v[8:9], v[8:9], v[6:7], v[20:21]
	v_ldexp_f64 v[6:7], v[6:7], 1
	v_add_f64 v[20:21], v[29:30], v[10:11]
	v_add_f64 v[25:26], v[42:43], v[8:9]
	v_add_f64 v[27:28], v[29:30], -v[20:21]
	v_mul_f64 v[29:30], v[25:26], v[20:21]
	v_add_f64 v[42:43], v[25:26], -v[42:43]
	v_add_f64 v[10:11], v[10:11], v[27:28]
	v_fma_f64 v[27:28], v[25:26], v[20:21], -v[29:30]
	v_add_f64 v[8:9], v[8:9], -v[42:43]
	v_fma_f64 v[10:11], v[25:26], v[10:11], v[27:28]
	v_fma_f64 v[8:9], v[8:9], v[20:21], v[10:11]
	v_frexp_exp_i32_f64_e32 v20, v[40:41]
	v_add_f64 v[10:11], v[29:30], v[8:9]
	v_subbrev_co_u32_e32 v27, vcc, 0, v20, vcc
	v_cvt_f64_i32_e32 v[27:28], v27
	v_cmp_eq_f64_e32 vcc, 1.0, v[40:41]
	v_add_f64 v[20:21], v[6:7], v[10:11]
	v_add_f64 v[25:26], v[10:11], -v[29:30]
	v_mul_f64 v[29:30], v[27:28], s[54:55]
	v_add_f64 v[6:7], v[20:21], -v[6:7]
	v_add_f64 v[8:9], v[8:9], -v[25:26]
	v_fma_f64 v[25:26], v[27:28], s[54:55], -v[29:30]
	v_add_f64 v[6:7], v[10:11], -v[6:7]
	v_add_f64 v[4:5], v[4:5], v[8:9]
	v_fma_f64 v[8:9], v[27:28], s[56:57], v[25:26]
	v_add_f64 v[4:5], v[4:5], v[6:7]
	v_add_f64 v[6:7], v[29:30], v[8:9]
	;; [unrolled: 1-line block ×3, first 2 shown]
	v_add_f64 v[29:30], v[6:7], -v[29:30]
	v_add_f64 v[25:26], v[6:7], v[10:11]
	v_add_f64 v[20:21], v[10:11], -v[20:21]
	v_add_f64 v[8:9], v[8:9], -v[29:30]
	;; [unrolled: 1-line block ×6, first 2 shown]
	v_add_f64 v[20:21], v[8:9], v[4:5]
	v_add_f64 v[6:7], v[6:7], -v[42:43]
	v_add_f64 v[6:7], v[10:11], v[6:7]
	v_add_f64 v[10:11], v[20:21], -v[8:9]
	;; [unrolled: 2-line block ×3, first 2 shown]
	v_add_f64 v[4:5], v[4:5], -v[10:11]
	v_add_f64 v[27:28], v[25:26], v[6:7]
	v_add_f64 v[8:9], v[8:9], -v[20:21]
	v_add_f64 v[10:11], v[27:28], -v[25:26]
	v_add_f64 v[4:5], v[4:5], v[8:9]
	v_mov_b32_e32 v8, 0x40080000
	v_cndmask_b32_e32 v25, v8, v59, vcc
	v_add_f64 v[6:7], v[6:7], -v[10:11]
	v_add_f64 v[4:5], v[4:5], v[6:7]
	v_add_f64 v[6:7], v[27:28], v[4:5]
	v_add_f64 v[8:9], v[6:7], -v[27:28]
	buffer_load_dword v28, off, s[96:99], 0 offset:24 ; 4-byte Folded Reload
	buffer_load_dword v29, off, s[96:99], 0 offset:28 ; 4-byte Folded Reload
	v_mul_f64 v[10:11], v[24:25], v[6:7]
	v_add_f64 v[4:5], v[4:5], -v[8:9]
	v_fma_f64 v[6:7], v[24:25], v[6:7], -v[10:11]
	v_cmp_class_f64_e64 vcc, v[10:11], s48
	v_fma_f64 v[4:5], v[24:25], v[4:5], v[6:7]
	v_add_f64 v[6:7], v[10:11], v[4:5]
	v_cndmask_b32_e32 v9, v7, v11, vcc
	v_cndmask_b32_e32 v8, v6, v10, vcc
	v_mul_f64 v[20:21], v[8:9], s[64:65]
	v_add_f64 v[6:7], v[6:7], -v[10:11]
	v_cmp_neq_f64_e64 vcc, |v[8:9]|, s[62:63]
	v_cmp_nlt_f64_e64 s[0:1], s[88:89], v[8:9]
	v_cmp_ngt_f64_e64 s[2:3], s[90:91], v[8:9]
	v_rndne_f64_e32 v[20:21], v[20:21]
	v_add_f64 v[4:5], v[4:5], -v[6:7]
	v_fma_f64 v[26:27], v[20:21], s[66:67], v[8:9]
	v_cndmask_b32_e32 v5, 0, v5, vcc
	v_cndmask_b32_e32 v4, 0, v4, vcc
	s_and_b64 vcc, s[2:3], s[0:1]
	v_fma_f64 v[26:27], v[20:21], s[68:69], v[26:27]
	v_cvt_i32_f64_e32 v20, v[20:21]
	s_waitcnt vmcnt(0)
	v_fma_f64 v[28:29], v[26:27], s[70:71], v[28:29]
	v_fma_f64 v[28:29], v[26:27], v[28:29], s[72:73]
	;; [unrolled: 1-line block ×9, first 2 shown]
	v_fma_f64 v[28:29], v[26:27], v[28:29], 1.0
	v_fma_f64 v[26:27], v[26:27], v[28:29], 1.0
	v_ldexp_f64 v[10:11], v[26:27], v20
	v_mul_f64 v[20:21], v[24:25], 0.5
	v_mov_b32_e32 v26, 0x7ff00000
	v_cndmask_b32_e64 v11, v26, v11, s[0:1]
	v_trunc_f64_e32 v[6:7], v[20:21]
	v_cndmask_b32_e64 v9, 0, v11, s[2:3]
	v_cndmask_b32_e32 v8, 0, v10, vcc
	v_trunc_f64_e32 v[10:11], v[24:25]
	v_fma_f64 v[4:5], v[8:9], v[4:5], v[8:9]
	v_cmp_class_f64_e64 s[0:1], v[8:9], s48
	v_cmp_neq_f64_e32 vcc, v[6:7], v[20:21]
	v_cmp_eq_f64_e64 s[2:3], v[10:11], v[24:25]
	v_cndmask_b32_e64 v5, v5, v9, s[0:1]
	v_cndmask_b32_e64 v4, v4, v8, s[0:1]
	v_cmp_gt_f64_e64 s[0:1], 0, v[40:41]
	s_and_b64 vcc, s[2:3], vcc
	v_cndmask_b32_e32 v7, v59, v41, vcc
	v_bfi_b32 v5, s49, v5, v7
	v_mov_b32_e32 v7, 0x7ff80000
	v_cndmask_b32_e64 v6, 0, v4, s[2:3]
	v_cndmask_b32_e64 v7, v7, v5, s[2:3]
	v_cmp_eq_f64_e64 s[2:3], 0, v[40:41]
	v_cndmask_b32_e32 v9, 0, v41, vcc
	v_cndmask_b32_e64 v5, v5, v7, s[0:1]
	v_cndmask_b32_e64 v4, v4, v6, s[0:1]
	;; [unrolled: 1-line block ×3, first 2 shown]
	v_bfi_b32 v8, s49, v8, v9
	s_or_b64 vcc, s[2:3], s[10:11]
	v_cndmask_b32_e64 v4, v4, 0, vcc
	v_cndmask_b32_e32 v5, v5, v8, vcc
	v_ldexp_f64 v[40:41], v[4:5], -2
.LBB1_29:                               ;   in Loop: Header=BB1_6 Depth=1
	s_or_b64 exec, exec, s[8:9]
                                        ; implicit-def: $vgpr42_vgpr43
.LBB1_30:                               ;   in Loop: Header=BB1_6 Depth=1
	s_andn2_saveexec_b64 s[0:1], s[6:7]
	s_cbranch_execz .LBB1_3
; %bb.31:                               ;   in Loop: Header=BB1_6 Depth=1
	s_mov_b32 s2, 0
	s_mov_b32 s3, 0xbff80000
	v_mul_f64 v[4:5], v[42:43], s[2:3]
	s_mov_b32 s2, 0
	s_mov_b32 s3, 0x3fe80000
	v_mul_f64 v[6:7], v[42:43], s[2:3]
	v_fma_f64 v[4:5], v[42:43], v[4:5], 1.0
	v_mul_f64 v[6:7], v[42:43], v[6:7]
	v_fma_f64 v[40:41], v[42:43], v[6:7], v[4:5]
	s_branch .LBB1_3
.LBB1_32:
	buffer_load_dword v4, off, s[96:99], 0 offset:56 ; 4-byte Folded Reload
	buffer_load_dword v5, off, s[96:99], 0 offset:60 ; 4-byte Folded Reload
	s_branch .LBB1_34
.LBB1_33:
	v_mov_b32_e32 v0, 0
	v_mov_b32_e32 v2, 0
	;; [unrolled: 1-line block ×6, first 2 shown]
.LBB1_34:
	s_waitcnt vmcnt(0)
	global_store_dwordx4 v[4:5], v[0:3], off offset:88
	global_store_dwordx2 v[4:5], v[22:23], off offset:104
.LBB1_35:
	s_endpgm
	.section	.rodata,"a",@progbits
	.p2align	6, 0x0
	.amdhsa_kernel _Z21updateAccelerationsFPP14fluid_particlePK5param
		.amdhsa_group_segment_fixed_size 0
		.amdhsa_private_segment_fixed_size 76
		.amdhsa_kernarg_size 272
		.amdhsa_user_sgpr_count 6
		.amdhsa_user_sgpr_private_segment_buffer 1
		.amdhsa_user_sgpr_dispatch_ptr 0
		.amdhsa_user_sgpr_queue_ptr 0
		.amdhsa_user_sgpr_kernarg_segment_ptr 1
		.amdhsa_user_sgpr_dispatch_id 0
		.amdhsa_user_sgpr_flat_scratch_init 0
		.amdhsa_user_sgpr_private_segment_size 0
		.amdhsa_uses_dynamic_stack 0
		.amdhsa_system_sgpr_private_segment_wavefront_offset 1
		.amdhsa_system_sgpr_workgroup_id_x 1
		.amdhsa_system_sgpr_workgroup_id_y 0
		.amdhsa_system_sgpr_workgroup_id_z 0
		.amdhsa_system_sgpr_workgroup_info 0
		.amdhsa_system_vgpr_workitem_id 0
		.amdhsa_next_free_vgpr 64
		.amdhsa_next_free_sgpr 100
		.amdhsa_reserve_vcc 1
		.amdhsa_reserve_flat_scratch 0
		.amdhsa_float_round_mode_32 0
		.amdhsa_float_round_mode_16_64 0
		.amdhsa_float_denorm_mode_32 3
		.amdhsa_float_denorm_mode_16_64 3
		.amdhsa_dx10_clamp 1
		.amdhsa_ieee_mode 1
		.amdhsa_fp16_overflow 0
		.amdhsa_exception_fp_ieee_invalid_op 0
		.amdhsa_exception_fp_denorm_src 0
		.amdhsa_exception_fp_ieee_div_zero 0
		.amdhsa_exception_fp_ieee_overflow 0
		.amdhsa_exception_fp_ieee_underflow 0
		.amdhsa_exception_fp_ieee_inexact 0
		.amdhsa_exception_int_div_zero 0
	.end_amdhsa_kernel
	.text
.Lfunc_end1:
	.size	_Z21updateAccelerationsFPP14fluid_particlePK5param, .Lfunc_end1-_Z21updateAccelerationsFPP14fluid_particlePK5param
                                        ; -- End function
	.set _Z21updateAccelerationsFPP14fluid_particlePK5param.num_vgpr, 64
	.set _Z21updateAccelerationsFPP14fluid_particlePK5param.num_agpr, 0
	.set _Z21updateAccelerationsFPP14fluid_particlePK5param.numbered_sgpr, 100
	.set _Z21updateAccelerationsFPP14fluid_particlePK5param.num_named_barrier, 0
	.set _Z21updateAccelerationsFPP14fluid_particlePK5param.private_seg_size, 76
	.set _Z21updateAccelerationsFPP14fluid_particlePK5param.uses_vcc, 1
	.set _Z21updateAccelerationsFPP14fluid_particlePK5param.uses_flat_scratch, 0
	.set _Z21updateAccelerationsFPP14fluid_particlePK5param.has_dyn_sized_stack, 0
	.set _Z21updateAccelerationsFPP14fluid_particlePK5param.has_recursion, 0
	.set _Z21updateAccelerationsFPP14fluid_particlePK5param.has_indirect_call, 0
	.section	.AMDGPU.csdata,"",@progbits
; Kernel info:
; codeLenInByte = 7484
; TotalNumSgprs: 104
; NumVgprs: 64
; ScratchSize: 76
; MemoryBound: 1
; FloatMode: 240
; IeeeMode: 1
; LDSByteSize: 0 bytes/workgroup (compile time only)
; SGPRBlocks: 12
; VGPRBlocks: 15
; NumSGPRsForWavesPerEU: 104
; NumVGPRsForWavesPerEU: 64
; Occupancy: 4
; WaveLimiterHint : 0
; COMPUTE_PGM_RSRC2:SCRATCH_EN: 1
; COMPUTE_PGM_RSRC2:USER_SGPR: 6
; COMPUTE_PGM_RSRC2:TRAP_HANDLER: 0
; COMPUTE_PGM_RSRC2:TGID_X_EN: 1
; COMPUTE_PGM_RSRC2:TGID_Y_EN: 0
; COMPUTE_PGM_RSRC2:TGID_Z_EN: 0
; COMPUTE_PGM_RSRC2:TIDIG_COMP_CNT: 0
	.text
	.protected	_Z21updateAccelerationsBPP14fluid_particlePK17boundary_particlePK5param ; -- Begin function _Z21updateAccelerationsBPP14fluid_particlePK17boundary_particlePK5param
	.globl	_Z21updateAccelerationsBPP14fluid_particlePK17boundary_particlePK5param
	.p2align	8
	.type	_Z21updateAccelerationsBPP14fluid_particlePK17boundary_particlePK5param,@function
_Z21updateAccelerationsBPP14fluid_particlePK17boundary_particlePK5param: ; @_Z21updateAccelerationsBPP14fluid_particlePK17boundary_particlePK5param
; %bb.0:
	s_load_dwordx2 s[0:1], s[4:5], 0x10
	s_load_dword s2, s[4:5], 0x24
	s_waitcnt lgkmcnt(0)
	s_and_b32 s2, s2, 0xffff
	s_load_dwordx2 s[12:13], s[0:1], 0x4c
	s_mul_i32 s6, s6, s2
	v_add_u32_e32 v0, s6, v0
	s_waitcnt lgkmcnt(0)
	v_cmp_gt_i32_e32 vcc, s12, v0
	s_and_saveexec_b64 s[2:3], vcc
	s_cbranch_execz .LBB2_11
; %bb.1:
	s_load_dwordx2 s[2:3], s[4:5], 0x0
	s_movk_i32 s6, 0x70
	s_cmp_lt_i32 s13, 1
	s_waitcnt lgkmcnt(0)
	v_mov_b32_e32 v1, s2
	v_mov_b32_e32 v2, s3
	v_mad_i64_i32 v[8:9], s[2:3], v0, s6, v[1:2]
	global_load_dwordx2 v[10:11], v[8:9], off offset:104
	global_load_dwordx4 v[0:3], v[8:9], off offset:88
	s_cbranch_scc1 .LBB2_10
; %bb.2:
	global_load_dwordx2 v[12:13], v[8:9], off offset:32
	global_load_dwordx4 v[4:7], v[8:9], off offset:16
	s_load_dwordx2 s[2:3], s[4:5], 0x8
	s_load_dwordx2 s[14:15], s[0:1], 0x18
	;; [unrolled: 1-line block ×3, first 2 shown]
	s_mov_b32 s20, 0
	s_mov_b32 s22, 0x55555555
	s_waitcnt lgkmcnt(0)
	s_add_u32 s18, s2, 24
	s_mov_b32 s24, 0
	s_mov_b32 s26, 0x47ae147b
	s_addc_u32 s19, s3, 0
	s_brev_b32 s21, 8
	v_mov_b32_e32 v28, 0x100
	v_mov_b32_e32 v29, 0x260
	s_mov_b32 s23, 0x3fe55555
	s_mov_b32 s25, 0xbff80000
	v_mov_b32_e32 v14, 0
	s_mov_b32 s27, 0x3f947ae1
	v_mov_b32_e32 v30, 0xffffff80
	s_branch .LBB2_5
.LBB2_3:                                ;   in Loop: Header=BB2_5 Depth=1
	s_or_b64 exec, exec, s[0:1]
.LBB2_4:                                ;   in Loop: Header=BB2_5 Depth=1
	s_or_b64 exec, exec, s[2:3]
	v_add_f64 v[18:19], v[20:21], v[18:19]
	s_add_i32 s13, s13, -1
	s_add_u32 s18, s18, 48
	s_addc_u32 s19, s19, 0
	s_cmp_eq_u32 s13, 0
	v_add_f64 v[18:19], v[24:25], v[18:19]
	v_cmp_gt_f64_e32 vcc, s[20:21], v[18:19]
	v_cndmask_b32_e32 v15, 0, v28, vcc
	v_ldexp_f64 v[18:19], v[18:19], v15
	v_cndmask_b32_e32 v15, 0, v30, vcc
	v_rsq_f64_e32 v[20:21], v[18:19]
	v_cmp_class_f64_e32 vcc, v[18:19], v29
	v_mul_f64 v[24:25], v[18:19], v[20:21]
	v_mul_f64 v[20:21], v[20:21], 0.5
	v_fma_f64 v[26:27], -v[20:21], v[24:25], 0.5
	v_fma_f64 v[24:25], v[24:25], v[26:27], v[24:25]
	v_fma_f64 v[20:21], v[20:21], v[26:27], v[20:21]
	v_fma_f64 v[26:27], -v[24:25], v[24:25], v[18:19]
	v_fma_f64 v[24:25], v[26:27], v[20:21], v[24:25]
	v_fma_f64 v[26:27], -v[24:25], v[24:25], v[18:19]
	v_fma_f64 v[20:21], v[26:27], v[20:21], v[24:25]
	v_ldexp_f64 v[20:21], v[20:21], v15
	v_mov_b32_e32 v15, 0x3ff00000
	v_cndmask_b32_e32 v19, v21, v19, vcc
	v_cndmask_b32_e32 v18, v20, v18, vcc
	v_add_f64 v[18:19], v[18:19], -v[16:17]
	v_div_scale_f64 v[20:21], s[0:1], s[14:15], s[14:15], v[18:19]
	v_rcp_f64_e32 v[24:25], v[20:21]
	v_fma_f64 v[26:27], -v[20:21], v[24:25], 1.0
	v_fma_f64 v[24:25], v[24:25], v[26:27], v[24:25]
	v_div_scale_f64 v[26:27], vcc, v[18:19], s[14:15], v[18:19]
	v_fma_f64 v[31:32], -v[20:21], v[24:25], 1.0
	v_fma_f64 v[24:25], v[24:25], v[31:32], v[24:25]
	v_mul_f64 v[31:32], v[26:27], v[24:25]
	v_fma_f64 v[20:21], -v[20:21], v[31:32], v[26:27]
	v_div_fmas_f64 v[20:21], v[20:21], v[24:25], v[31:32]
	v_cmp_gt_f64_e32 vcc, s[14:15], v[18:19]
	v_cndmask_b32_e32 v15, 0, v15, vcc
	v_add_f64 v[24:25], v[14:15], v[14:15]
	v_div_fixup_f64 v[18:19], v[20:21], s[14:15], v[18:19]
	v_mul_f64 v[20:21], v[24:25], s[26:27]
	v_cmp_neq_f64_e32 vcc, 1.0, v[18:19]
	v_cndmask_b32_e32 v19, 0, v21, vcc
	v_cndmask_b32_e32 v18, 0, v20, vcc
	v_mul_f64 v[18:19], s[16:17], v[18:19]
	v_mul_f64 v[18:19], s[16:17], v[18:19]
	v_div_scale_f64 v[20:21], s[0:1], v[16:17], v[16:17], v[18:19]
	v_rcp_f64_e32 v[24:25], v[20:21]
	v_fma_f64 v[26:27], -v[20:21], v[24:25], 1.0
	v_fma_f64 v[24:25], v[24:25], v[26:27], v[24:25]
	v_div_scale_f64 v[26:27], vcc, v[18:19], v[16:17], v[18:19]
	v_fma_f64 v[31:32], -v[20:21], v[24:25], 1.0
	v_fma_f64 v[24:25], v[24:25], v[31:32], v[24:25]
	v_mul_f64 v[31:32], v[26:27], v[24:25]
	v_fma_f64 v[20:21], -v[20:21], v[31:32], v[26:27]
	v_div_fmas_f64 v[20:21], v[20:21], v[24:25], v[31:32]
	v_div_fixup_f64 v[15:16], v[20:21], v[16:17], v[18:19]
	v_mul_f64 v[15:16], v[15:16], v[22:23]
	v_fma_f64 v[0:1], s[6:7], v[15:16], v[0:1]
	v_fma_f64 v[2:3], s[8:9], v[15:16], v[2:3]
	;; [unrolled: 1-line block ×3, first 2 shown]
	s_cbranch_scc1 .LBB2_10
.LBB2_5:                                ; =>This Inner Loop Header: Depth=1
	s_add_u32 s8, s18, 0xffffffe8
	s_addc_u32 s9, s19, -1
	s_load_dwordx8 s[0:7], s[8:9], 0x0
	s_waitcnt vmcnt(0) lgkmcnt(0)
	v_add_f64 v[15:16], v[6:7], -s[2:3]
	s_load_dwordx4 s[8:11], s[18:19], 0x8
	v_add_f64 v[20:21], v[4:5], -s[0:1]
	v_add_f64 v[24:25], v[12:13], -s[4:5]
	s_waitcnt lgkmcnt(0)
	v_mul_f64 v[22:23], s[8:9], s[8:9]
	v_mul_f64 v[18:19], v[15:16], v[15:16]
	;; [unrolled: 1-line block ×6, first 2 shown]
	v_fma_f64 v[15:16], v[20:21], v[15:16], v[22:23]
	v_mul_f64 v[22:23], s[10:11], s[10:11]
	v_fma_f64 v[15:16], v[24:25], v[22:23], v[15:16]
	v_cmp_gt_f64_e32 vcc, s[20:21], v[15:16]
	v_cndmask_b32_e32 v17, 0, v28, vcc
	v_ldexp_f64 v[15:16], v[15:16], v17
	v_cndmask_b32_e32 v17, 0, v30, vcc
	v_rsq_f64_e32 v[22:23], v[15:16]
	v_cmp_class_f64_e32 vcc, v[15:16], v29
	v_mul_f64 v[26:27], v[15:16], v[22:23]
	v_mul_f64 v[22:23], v[22:23], 0.5
	v_fma_f64 v[31:32], -v[22:23], v[26:27], 0.5
	v_fma_f64 v[26:27], v[26:27], v[31:32], v[26:27]
	v_fma_f64 v[22:23], v[22:23], v[31:32], v[22:23]
	v_fma_f64 v[31:32], -v[26:27], v[26:27], v[15:16]
	v_fma_f64 v[26:27], v[31:32], v[22:23], v[26:27]
	v_fma_f64 v[31:32], -v[26:27], v[26:27], v[15:16]
	v_fma_f64 v[22:23], v[31:32], v[22:23], v[26:27]
	v_ldexp_f64 v[22:23], v[22:23], v17
	v_cndmask_b32_e32 v17, v23, v16, vcc
	v_cndmask_b32_e32 v16, v22, v15, vcc
	v_div_scale_f64 v[22:23], s[0:1], s[14:15], s[14:15], v[16:17]
	v_rcp_f64_e32 v[26:27], v[22:23]
	v_fma_f64 v[31:32], -v[22:23], v[26:27], 1.0
	v_fma_f64 v[26:27], v[26:27], v[31:32], v[26:27]
	v_fma_f64 v[31:32], -v[22:23], v[26:27], 1.0
	v_fma_f64 v[26:27], v[26:27], v[31:32], v[26:27]
	v_div_scale_f64 v[31:32], vcc, v[16:17], s[14:15], v[16:17]
	v_mul_f64 v[33:34], v[31:32], v[26:27]
	v_fma_f64 v[22:23], -v[22:23], v[33:34], v[31:32]
	s_nop 1
	v_div_fmas_f64 v[22:23], v[22:23], v[26:27], v[33:34]
	v_div_fixup_f64 v[26:27], v[22:23], s[14:15], v[16:17]
	v_mov_b32_e32 v22, s22
	v_mov_b32_e32 v23, s23
	v_cmp_nlt_f64_e32 vcc, 0, v[26:27]
	v_cmp_ngt_f64_e64 s[0:1], s[22:23], v[26:27]
	s_or_b64 s[0:1], vcc, s[0:1]
	s_and_saveexec_b64 s[2:3], s[0:1]
	s_cbranch_execz .LBB2_4
; %bb.6:                                ;   in Loop: Header=BB2_5 Depth=1
	v_cmp_ngt_f64_e32 vcc, 1.0, v[26:27]
	v_cmp_nlt_f64_e64 s[0:1], s[22:23], v[26:27]
                                        ; implicit-def: $vgpr22_vgpr23
	s_or_b64 s[0:1], vcc, s[0:1]
	s_and_saveexec_b64 s[4:5], s[0:1]
	s_xor_b64 s[4:5], exec, s[4:5]
	s_cbranch_execz .LBB2_8
; %bb.7:                                ;   in Loop: Header=BB2_5 Depth=1
	v_add_f64 v[22:23], -v[26:27], 2.0
	v_cmp_gt_f64_e32 vcc, 2.0, v[26:27]
	v_cmp_lt_f64_e64 s[0:1], 1.0, v[26:27]
                                        ; implicit-def: $vgpr26_vgpr27
	v_mul_f64 v[31:32], v[22:23], 0.5
	s_and_b64 vcc, vcc, s[0:1]
	v_mul_f64 v[22:23], v[22:23], v[31:32]
	v_cndmask_b32_e32 v23, 0, v23, vcc
	v_cndmask_b32_e32 v22, 0, v22, vcc
.LBB2_8:                                ;   in Loop: Header=BB2_5 Depth=1
	s_andn2_saveexec_b64 s[0:1], s[4:5]
	s_cbranch_execz .LBB2_3
; %bb.9:                                ;   in Loop: Header=BB2_5 Depth=1
	v_mul_f64 v[22:23], v[26:27], s[24:25]
	v_mul_f64 v[22:23], v[26:27], v[22:23]
	v_fma_f64 v[22:23], v[26:27], 2.0, v[22:23]
	s_branch .LBB2_3
.LBB2_10:
	s_waitcnt vmcnt(0)
	global_store_dwordx4 v[8:9], v[0:3], off offset:88
	global_store_dwordx2 v[8:9], v[10:11], off offset:104
.LBB2_11:
	s_endpgm
	.section	.rodata,"a",@progbits
	.p2align	6, 0x0
	.amdhsa_kernel _Z21updateAccelerationsBPP14fluid_particlePK17boundary_particlePK5param
		.amdhsa_group_segment_fixed_size 0
		.amdhsa_private_segment_fixed_size 0
		.amdhsa_kernarg_size 280
		.amdhsa_user_sgpr_count 6
		.amdhsa_user_sgpr_private_segment_buffer 1
		.amdhsa_user_sgpr_dispatch_ptr 0
		.amdhsa_user_sgpr_queue_ptr 0
		.amdhsa_user_sgpr_kernarg_segment_ptr 1
		.amdhsa_user_sgpr_dispatch_id 0
		.amdhsa_user_sgpr_flat_scratch_init 0
		.amdhsa_user_sgpr_private_segment_size 0
		.amdhsa_uses_dynamic_stack 0
		.amdhsa_system_sgpr_private_segment_wavefront_offset 0
		.amdhsa_system_sgpr_workgroup_id_x 1
		.amdhsa_system_sgpr_workgroup_id_y 0
		.amdhsa_system_sgpr_workgroup_id_z 0
		.amdhsa_system_sgpr_workgroup_info 0
		.amdhsa_system_vgpr_workitem_id 0
		.amdhsa_next_free_vgpr 35
		.amdhsa_next_free_sgpr 28
		.amdhsa_reserve_vcc 1
		.amdhsa_reserve_flat_scratch 0
		.amdhsa_float_round_mode_32 0
		.amdhsa_float_round_mode_16_64 0
		.amdhsa_float_denorm_mode_32 3
		.amdhsa_float_denorm_mode_16_64 3
		.amdhsa_dx10_clamp 1
		.amdhsa_ieee_mode 1
		.amdhsa_fp16_overflow 0
		.amdhsa_exception_fp_ieee_invalid_op 0
		.amdhsa_exception_fp_denorm_src 0
		.amdhsa_exception_fp_ieee_div_zero 0
		.amdhsa_exception_fp_ieee_overflow 0
		.amdhsa_exception_fp_ieee_underflow 0
		.amdhsa_exception_fp_ieee_inexact 0
		.amdhsa_exception_int_div_zero 0
	.end_amdhsa_kernel
	.text
.Lfunc_end2:
	.size	_Z21updateAccelerationsBPP14fluid_particlePK17boundary_particlePK5param, .Lfunc_end2-_Z21updateAccelerationsBPP14fluid_particlePK17boundary_particlePK5param
                                        ; -- End function
	.set _Z21updateAccelerationsBPP14fluid_particlePK17boundary_particlePK5param.num_vgpr, 35
	.set _Z21updateAccelerationsBPP14fluid_particlePK17boundary_particlePK5param.num_agpr, 0
	.set _Z21updateAccelerationsBPP14fluid_particlePK17boundary_particlePK5param.numbered_sgpr, 28
	.set _Z21updateAccelerationsBPP14fluid_particlePK17boundary_particlePK5param.num_named_barrier, 0
	.set _Z21updateAccelerationsBPP14fluid_particlePK17boundary_particlePK5param.private_seg_size, 0
	.set _Z21updateAccelerationsBPP14fluid_particlePK17boundary_particlePK5param.uses_vcc, 1
	.set _Z21updateAccelerationsBPP14fluid_particlePK17boundary_particlePK5param.uses_flat_scratch, 0
	.set _Z21updateAccelerationsBPP14fluid_particlePK17boundary_particlePK5param.has_dyn_sized_stack, 0
	.set _Z21updateAccelerationsBPP14fluid_particlePK17boundary_particlePK5param.has_recursion, 0
	.set _Z21updateAccelerationsBPP14fluid_particlePK17boundary_particlePK5param.has_indirect_call, 0
	.section	.AMDGPU.csdata,"",@progbits
; Kernel info:
; codeLenInByte = 1184
; TotalNumSgprs: 32
; NumVgprs: 35
; ScratchSize: 0
; MemoryBound: 1
; FloatMode: 240
; IeeeMode: 1
; LDSByteSize: 0 bytes/workgroup (compile time only)
; SGPRBlocks: 3
; VGPRBlocks: 8
; NumSGPRsForWavesPerEU: 32
; NumVGPRsForWavesPerEU: 35
; Occupancy: 7
; WaveLimiterHint : 0
; COMPUTE_PGM_RSRC2:SCRATCH_EN: 0
; COMPUTE_PGM_RSRC2:USER_SGPR: 6
; COMPUTE_PGM_RSRC2:TRAP_HANDLER: 0
; COMPUTE_PGM_RSRC2:TGID_X_EN: 1
; COMPUTE_PGM_RSRC2:TGID_Y_EN: 0
; COMPUTE_PGM_RSRC2:TGID_Z_EN: 0
; COMPUTE_PGM_RSRC2:TIDIG_COMP_CNT: 0
	.text
	.protected	_Z15updatePositionsP14fluid_particlePK5param ; -- Begin function _Z15updatePositionsP14fluid_particlePK5param
	.globl	_Z15updatePositionsP14fluid_particlePK5param
	.p2align	8
	.type	_Z15updatePositionsP14fluid_particlePK5param,@function
_Z15updatePositionsP14fluid_particlePK5param: ; @_Z15updatePositionsP14fluid_particlePK5param
; %bb.0:
	s_load_dwordx2 s[0:1], s[4:5], 0x8
	s_load_dword s2, s[4:5], 0x1c
	s_waitcnt lgkmcnt(0)
	s_and_b32 s2, s2, 0xffff
	s_load_dword s3, s[0:1], 0x4c
	s_mul_i32 s6, s6, s2
	v_add_u32_e32 v0, s6, v0
	s_waitcnt lgkmcnt(0)
	v_cmp_gt_i32_e32 vcc, s3, v0
	s_and_saveexec_b64 s[2:3], vcc
	s_cbranch_execz .LBB3_2
; %bb.1:
	s_load_dwordx2 s[2:3], s[4:5], 0x0
	s_movk_i32 s4, 0x70
	s_waitcnt lgkmcnt(0)
	v_mov_b32_e32 v1, s2
	v_mov_b32_e32 v2, s3
	v_mad_i64_i32 v[16:17], s[2:3], v0, s4, v[1:2]
	global_load_dwordx4 v[0:3], v[16:17], off offset:80
	global_load_dwordx4 v[4:7], v[16:17], off offset:64
	;; [unrolled: 1-line block ×3, first 2 shown]
	s_load_dwordx2 s[0:1], s[0:1], 0x28
	global_load_dwordx4 v[12:15], v[16:17], off offset:16
	s_waitcnt lgkmcnt(0)
	v_mul_f64 v[18:19], s[0:1], 0.5
	s_waitcnt vmcnt(2)
	v_fma_f64 v[4:5], s[0:1], v[2:3], v[4:5]
	s_waitcnt vmcnt(1)
	v_fma_f64 v[20:21], s[0:1], v[10:11], v[0:1]
	global_load_dwordx2 v[0:1], v[16:17], off offset:32
	v_fma_f64 v[6:7], s[0:1], v[8:9], v[6:7]
	s_waitcnt vmcnt(1)
	v_fma_f64 v[12:13], s[0:1], v[4:5], v[12:13]
	v_fma_f64 v[10:11], v[18:19], v[10:11], v[20:21]
	;; [unrolled: 1-line block ×5, first 2 shown]
	s_waitcnt vmcnt(0)
	v_fma_f64 v[0:1], s[0:1], v[20:21], v[0:1]
	global_store_dwordx4 v[16:17], v[4:7], off offset:64
	global_store_dwordx2 v[16:17], v[20:21], off offset:80
	global_store_dwordx4 v[16:17], v[8:11], off offset:48
	global_store_dwordx4 v[16:17], v[12:15], off offset:16
	;; [unrolled: 1-line block ×3, first 2 shown]
.LBB3_2:
	s_endpgm
	.section	.rodata,"a",@progbits
	.p2align	6, 0x0
	.amdhsa_kernel _Z15updatePositionsP14fluid_particlePK5param
		.amdhsa_group_segment_fixed_size 0
		.amdhsa_private_segment_fixed_size 0
		.amdhsa_kernarg_size 272
		.amdhsa_user_sgpr_count 6
		.amdhsa_user_sgpr_private_segment_buffer 1
		.amdhsa_user_sgpr_dispatch_ptr 0
		.amdhsa_user_sgpr_queue_ptr 0
		.amdhsa_user_sgpr_kernarg_segment_ptr 1
		.amdhsa_user_sgpr_dispatch_id 0
		.amdhsa_user_sgpr_flat_scratch_init 0
		.amdhsa_user_sgpr_private_segment_size 0
		.amdhsa_uses_dynamic_stack 0
		.amdhsa_system_sgpr_private_segment_wavefront_offset 0
		.amdhsa_system_sgpr_workgroup_id_x 1
		.amdhsa_system_sgpr_workgroup_id_y 0
		.amdhsa_system_sgpr_workgroup_id_z 0
		.amdhsa_system_sgpr_workgroup_info 0
		.amdhsa_system_vgpr_workitem_id 0
		.amdhsa_next_free_vgpr 22
		.amdhsa_next_free_sgpr 7
		.amdhsa_reserve_vcc 1
		.amdhsa_reserve_flat_scratch 0
		.amdhsa_float_round_mode_32 0
		.amdhsa_float_round_mode_16_64 0
		.amdhsa_float_denorm_mode_32 3
		.amdhsa_float_denorm_mode_16_64 3
		.amdhsa_dx10_clamp 1
		.amdhsa_ieee_mode 1
		.amdhsa_fp16_overflow 0
		.amdhsa_exception_fp_ieee_invalid_op 0
		.amdhsa_exception_fp_denorm_src 0
		.amdhsa_exception_fp_ieee_div_zero 0
		.amdhsa_exception_fp_ieee_overflow 0
		.amdhsa_exception_fp_ieee_underflow 0
		.amdhsa_exception_fp_ieee_inexact 0
		.amdhsa_exception_int_div_zero 0
	.end_amdhsa_kernel
	.text
.Lfunc_end3:
	.size	_Z15updatePositionsP14fluid_particlePK5param, .Lfunc_end3-_Z15updatePositionsP14fluid_particlePK5param
                                        ; -- End function
	.set _Z15updatePositionsP14fluid_particlePK5param.num_vgpr, 22
	.set _Z15updatePositionsP14fluid_particlePK5param.num_agpr, 0
	.set _Z15updatePositionsP14fluid_particlePK5param.numbered_sgpr, 7
	.set _Z15updatePositionsP14fluid_particlePK5param.num_named_barrier, 0
	.set _Z15updatePositionsP14fluid_particlePK5param.private_seg_size, 0
	.set _Z15updatePositionsP14fluid_particlePK5param.uses_vcc, 1
	.set _Z15updatePositionsP14fluid_particlePK5param.uses_flat_scratch, 0
	.set _Z15updatePositionsP14fluid_particlePK5param.has_dyn_sized_stack, 0
	.set _Z15updatePositionsP14fluid_particlePK5param.has_recursion, 0
	.set _Z15updatePositionsP14fluid_particlePK5param.has_indirect_call, 0
	.section	.AMDGPU.csdata,"",@progbits
; Kernel info:
; codeLenInByte = 284
; TotalNumSgprs: 11
; NumVgprs: 22
; ScratchSize: 0
; MemoryBound: 0
; FloatMode: 240
; IeeeMode: 1
; LDSByteSize: 0 bytes/workgroup (compile time only)
; SGPRBlocks: 1
; VGPRBlocks: 5
; NumSGPRsForWavesPerEU: 11
; NumVGPRsForWavesPerEU: 22
; Occupancy: 10
; WaveLimiterHint : 0
; COMPUTE_PGM_RSRC2:SCRATCH_EN: 0
; COMPUTE_PGM_RSRC2:USER_SGPR: 6
; COMPUTE_PGM_RSRC2:TRAP_HANDLER: 0
; COMPUTE_PGM_RSRC2:TGID_X_EN: 1
; COMPUTE_PGM_RSRC2:TGID_Y_EN: 0
; COMPUTE_PGM_RSRC2:TGID_Z_EN: 0
; COMPUTE_PGM_RSRC2:TIDIG_COMP_CNT: 0
	.section	.AMDGPU.gpr_maximums,"",@progbits
	.set amdgpu.max_num_vgpr, 0
	.set amdgpu.max_num_agpr, 0
	.set amdgpu.max_num_sgpr, 0
	.section	.AMDGPU.csdata,"",@progbits
	.type	__hip_cuid_85aa2753e04e961d,@object ; @__hip_cuid_85aa2753e04e961d
	.section	.bss,"aw",@nobits
	.globl	__hip_cuid_85aa2753e04e961d
__hip_cuid_85aa2753e04e961d:
	.byte	0                               ; 0x0
	.size	__hip_cuid_85aa2753e04e961d, 1

	.ident	"AMD clang version 22.0.0git (https://github.com/RadeonOpenCompute/llvm-project roc-7.2.4 26084 f58b06dce1f9c15707c5f808fd002e18c2accf7e)"
	.section	".note.GNU-stack","",@progbits
	.addrsig
	.addrsig_sym __hip_cuid_85aa2753e04e961d
	.amdgpu_metadata
---
amdhsa.kernels:
  - .args:
      - .address_space:  global
        .offset:         0
        .size:           8
        .value_kind:     global_buffer
      - .actual_access:  read_only
        .address_space:  global
        .offset:         8
        .size:           8
        .value_kind:     global_buffer
      - .offset:         16
        .size:           4
        .value_kind:     hidden_block_count_x
      - .offset:         20
        .size:           4
        .value_kind:     hidden_block_count_y
      - .offset:         24
        .size:           4
        .value_kind:     hidden_block_count_z
      - .offset:         28
        .size:           2
        .value_kind:     hidden_group_size_x
      - .offset:         30
        .size:           2
        .value_kind:     hidden_group_size_y
      - .offset:         32
        .size:           2
        .value_kind:     hidden_group_size_z
      - .offset:         34
        .size:           2
        .value_kind:     hidden_remainder_x
      - .offset:         36
        .size:           2
        .value_kind:     hidden_remainder_y
      - .offset:         38
        .size:           2
        .value_kind:     hidden_remainder_z
      - .offset:         56
        .size:           8
        .value_kind:     hidden_global_offset_x
      - .offset:         64
        .size:           8
        .value_kind:     hidden_global_offset_y
      - .offset:         72
        .size:           8
        .value_kind:     hidden_global_offset_z
      - .offset:         80
        .size:           2
        .value_kind:     hidden_grid_dims
    .group_segment_fixed_size: 0
    .kernarg_segment_align: 8
    .kernarg_segment_size: 272
    .language:       OpenCL C
    .language_version:
      - 2
      - 0
    .max_flat_workgroup_size: 1024
    .name:           _Z15updatePressuresP14fluid_particlePK5param
    .private_segment_fixed_size: 0
    .sgpr_count:     100
    .sgpr_spill_count: 0
    .symbol:         _Z15updatePressuresP14fluid_particlePK5param.kd
    .uniform_work_group_size: 1
    .uses_dynamic_stack: false
    .vgpr_count:     62
    .vgpr_spill_count: 0
    .wavefront_size: 64
  - .args:
      - .address_space:  global
        .offset:         0
        .size:           8
        .value_kind:     global_buffer
      - .actual_access:  read_only
        .address_space:  global
        .offset:         8
        .size:           8
        .value_kind:     global_buffer
      - .offset:         16
        .size:           4
        .value_kind:     hidden_block_count_x
      - .offset:         20
        .size:           4
        .value_kind:     hidden_block_count_y
      - .offset:         24
        .size:           4
        .value_kind:     hidden_block_count_z
      - .offset:         28
        .size:           2
        .value_kind:     hidden_group_size_x
      - .offset:         30
        .size:           2
        .value_kind:     hidden_group_size_y
      - .offset:         32
        .size:           2
        .value_kind:     hidden_group_size_z
      - .offset:         34
        .size:           2
        .value_kind:     hidden_remainder_x
      - .offset:         36
        .size:           2
        .value_kind:     hidden_remainder_y
      - .offset:         38
        .size:           2
        .value_kind:     hidden_remainder_z
      - .offset:         56
        .size:           8
        .value_kind:     hidden_global_offset_x
      - .offset:         64
        .size:           8
        .value_kind:     hidden_global_offset_y
      - .offset:         72
        .size:           8
        .value_kind:     hidden_global_offset_z
      - .offset:         80
        .size:           2
        .value_kind:     hidden_grid_dims
    .group_segment_fixed_size: 0
    .kernarg_segment_align: 8
    .kernarg_segment_size: 272
    .language:       OpenCL C
    .language_version:
      - 2
      - 0
    .max_flat_workgroup_size: 1024
    .name:           _Z21updateAccelerationsFPP14fluid_particlePK5param
    .private_segment_fixed_size: 76
    .sgpr_count:     104
    .sgpr_spill_count: 0
    .symbol:         _Z21updateAccelerationsFPP14fluid_particlePK5param.kd
    .uniform_work_group_size: 1
    .uses_dynamic_stack: false
    .vgpr_count:     64
    .vgpr_spill_count: 18
    .wavefront_size: 64
  - .args:
      - .address_space:  global
        .offset:         0
        .size:           8
        .value_kind:     global_buffer
      - .actual_access:  read_only
        .address_space:  global
        .offset:         8
        .size:           8
        .value_kind:     global_buffer
      - .actual_access:  read_only
        .address_space:  global
        .offset:         16
        .size:           8
        .value_kind:     global_buffer
      - .offset:         24
        .size:           4
        .value_kind:     hidden_block_count_x
      - .offset:         28
        .size:           4
        .value_kind:     hidden_block_count_y
      - .offset:         32
        .size:           4
        .value_kind:     hidden_block_count_z
      - .offset:         36
        .size:           2
        .value_kind:     hidden_group_size_x
      - .offset:         38
        .size:           2
        .value_kind:     hidden_group_size_y
      - .offset:         40
        .size:           2
        .value_kind:     hidden_group_size_z
      - .offset:         42
        .size:           2
        .value_kind:     hidden_remainder_x
      - .offset:         44
        .size:           2
        .value_kind:     hidden_remainder_y
      - .offset:         46
        .size:           2
        .value_kind:     hidden_remainder_z
      - .offset:         64
        .size:           8
        .value_kind:     hidden_global_offset_x
      - .offset:         72
        .size:           8
        .value_kind:     hidden_global_offset_y
      - .offset:         80
        .size:           8
        .value_kind:     hidden_global_offset_z
      - .offset:         88
        .size:           2
        .value_kind:     hidden_grid_dims
    .group_segment_fixed_size: 0
    .kernarg_segment_align: 8
    .kernarg_segment_size: 280
    .language:       OpenCL C
    .language_version:
      - 2
      - 0
    .max_flat_workgroup_size: 1024
    .name:           _Z21updateAccelerationsBPP14fluid_particlePK17boundary_particlePK5param
    .private_segment_fixed_size: 0
    .sgpr_count:     32
    .sgpr_spill_count: 0
    .symbol:         _Z21updateAccelerationsBPP14fluid_particlePK17boundary_particlePK5param.kd
    .uniform_work_group_size: 1
    .uses_dynamic_stack: false
    .vgpr_count:     35
    .vgpr_spill_count: 0
    .wavefront_size: 64
  - .args:
      - .address_space:  global
        .offset:         0
        .size:           8
        .value_kind:     global_buffer
      - .actual_access:  read_only
        .address_space:  global
        .offset:         8
        .size:           8
        .value_kind:     global_buffer
      - .offset:         16
        .size:           4
        .value_kind:     hidden_block_count_x
      - .offset:         20
        .size:           4
        .value_kind:     hidden_block_count_y
      - .offset:         24
        .size:           4
        .value_kind:     hidden_block_count_z
      - .offset:         28
        .size:           2
        .value_kind:     hidden_group_size_x
      - .offset:         30
        .size:           2
        .value_kind:     hidden_group_size_y
      - .offset:         32
        .size:           2
        .value_kind:     hidden_group_size_z
      - .offset:         34
        .size:           2
        .value_kind:     hidden_remainder_x
      - .offset:         36
        .size:           2
        .value_kind:     hidden_remainder_y
      - .offset:         38
        .size:           2
        .value_kind:     hidden_remainder_z
      - .offset:         56
        .size:           8
        .value_kind:     hidden_global_offset_x
      - .offset:         64
        .size:           8
        .value_kind:     hidden_global_offset_y
      - .offset:         72
        .size:           8
        .value_kind:     hidden_global_offset_z
      - .offset:         80
        .size:           2
        .value_kind:     hidden_grid_dims
    .group_segment_fixed_size: 0
    .kernarg_segment_align: 8
    .kernarg_segment_size: 272
    .language:       OpenCL C
    .language_version:
      - 2
      - 0
    .max_flat_workgroup_size: 1024
    .name:           _Z15updatePositionsP14fluid_particlePK5param
    .private_segment_fixed_size: 0
    .sgpr_count:     11
    .sgpr_spill_count: 0
    .symbol:         _Z15updatePositionsP14fluid_particlePK5param.kd
    .uniform_work_group_size: 1
    .uses_dynamic_stack: false
    .vgpr_count:     22
    .vgpr_spill_count: 0
    .wavefront_size: 64
amdhsa.target:   amdgcn-amd-amdhsa--gfx906
amdhsa.version:
  - 1
  - 2
...

	.end_amdgpu_metadata
